;; amdgpu-corpus repo=ROCm/rocFFT kind=compiled arch=gfx950 opt=O3
	.text
	.amdgcn_target "amdgcn-amd-amdhsa--gfx950"
	.amdhsa_code_object_version 6
	.protected	bluestein_single_back_len1680_dim1_dp_op_CI_CI ; -- Begin function bluestein_single_back_len1680_dim1_dp_op_CI_CI
	.globl	bluestein_single_back_len1680_dim1_dp_op_CI_CI
	.p2align	8
	.type	bluestein_single_back_len1680_dim1_dp_op_CI_CI,@function
bluestein_single_back_len1680_dim1_dp_op_CI_CI: ; @bluestein_single_back_len1680_dim1_dp_op_CI_CI
; %bb.0:
	s_load_dwordx4 s[8:11], s[0:1], 0x28
	v_mul_u32_u24_e32 v1, 0x24a, v0
	v_mov_b32_e32 v29, 0
	v_add_u32_sdwa v30, s2, v1 dst_sel:DWORD dst_unused:UNUSED_PAD src0_sel:DWORD src1_sel:WORD_1
	v_mov_b32_e32 v31, v29
	s_waitcnt lgkmcnt(0)
	v_cmp_gt_u64_e32 vcc, s[8:9], v[30:31]
	s_and_saveexec_b64 s[2:3], vcc
	s_cbranch_execz .LBB0_47
; %bb.1:
	s_load_dwordx4 s[4:7], s[0:1], 0x18
	s_load_dwordx2 s[14:15], s[0:1], 0x0
	v_mov_b32_e32 v2, s10
	v_mov_b32_e32 v3, s11
	s_movk_i32 s2, 0x70
	s_waitcnt lgkmcnt(0)
	s_load_dwordx4 s[8:11], s[4:5], 0x0
	v_mul_lo_u16_sdwa v1, v1, s2 dst_sel:DWORD dst_unused:UNUSED_PAD src0_sel:WORD_1 src1_sel:DWORD
	v_sub_u16_e32 v28, v0, v1
	v_lshlrev_b32_e32 v26, 4, v28
	v_mov_b32_e32 v27, v29
	s_waitcnt lgkmcnt(0)
	v_mad_u64_u32 v[0:1], s[2:3], s10, v30, 0
	v_mov_b32_e32 v4, v1
	v_mad_u64_u32 v[4:5], s[2:3], s11, v30, v[4:5]
	v_mov_b32_e32 v1, v4
	v_mad_u64_u32 v[4:5], s[2:3], s8, v28, 0
	v_mov_b32_e32 v6, v5
	v_mad_u64_u32 v[6:7], s[2:3], s9, v28, v[6:7]
	s_mul_i32 s2, s9, 0x348
	s_mul_hi_u32 s3, s8, 0x348
	v_mov_b32_e32 v5, v6
	v_lshl_add_u64 v[0:1], v[0:1], 4, v[2:3]
	s_add_i32 s3, s3, s2
	s_mul_i32 s2, s8, 0x348
	v_lshl_add_u64 v[0:1], v[4:5], 4, v[0:1]
	v_lshl_add_u64 v[24:25], s[14:15], 0, v[26:27]
	s_lshl_b64 s[4:5], s[2:3], 4
	s_movk_i32 s10, 0x3000
	v_lshl_add_u64 v[2:3], v[0:1], 0, s[4:5]
	global_load_dwordx4 v[60:63], v[0:1], off
	global_load_dwordx4 v[56:59], v[2:3], off
	v_add_co_u32_e32 v0, vcc, s10, v24
	s_mul_hi_u32 s10, s8, 0xfffffd28
	s_nop 0
	v_addc_co_u32_e32 v1, vcc, 0, v25, vcc
	s_mulk_i32 s9, 0xfd28
	s_sub_i32 s10, s10, s8
	global_load_dwordx4 v[128:131], v26, s[14:15]
	global_load_dwordx4 v[38:41], v26, s[14:15] offset:1792
	global_load_dwordx4 v[34:37], v[0:1], off offset:1152
	s_add_i32 s17, s10, s9
	s_mul_i32 s16, s8, 0xfffffd28
	s_lshl_b64 s[8:9], s[16:17], 4
	v_lshl_add_u64 v[2:3], v[2:3], 0, s[8:9]
	v_lshl_add_u64 v[4:5], v[2:3], 0, s[4:5]
	global_load_dwordx4 v[68:71], v[2:3], off
	global_load_dwordx4 v[64:67], v[4:5], off
	global_load_dwordx4 v[42:45], v[0:1], off offset:2944
	v_lshl_add_u64 v[0:1], v[4:5], 0, s[8:9]
	s_movk_i32 s10, 0x4000
	global_load_dwordx4 v[72:75], v[0:1], off
	global_load_dwordx4 v[46:49], v26, s[14:15] offset:3584
	v_add_co_u32_e32 v10, vcc, s10, v24
	v_lshl_add_u64 v[0:1], v[0:1], 0, s[4:5]
	s_nop 0
	v_addc_co_u32_e32 v11, vcc, 0, v25, vcc
	s_movk_i32 s10, 0x1000
	global_load_dwordx4 v[76:79], v[0:1], off
	global_load_dwordx4 v[50:53], v[10:11], off offset:640
	v_add_co_u32_e32 v14, vcc, s10, v24
	v_lshl_add_u64 v[0:1], v[0:1], 0, s[8:9]
	s_nop 0
	v_addc_co_u32_e32 v15, vcc, 0, v25, vcc
	global_load_dwordx4 v[96:99], v[14:15], off offset:1280
	global_load_dwordx4 v[2:5], v[0:1], off
	v_lshl_add_u64 v[0:1], v[0:1], 0, s[4:5]
	global_load_dwordx4 v[6:9], v[0:1], off
	global_load_dwordx4 v[100:103], v[10:11], off offset:2432
	v_lshl_add_u64 v[0:1], v[0:1], 0, s[8:9]
	s_movk_i32 s10, 0x5000
	global_load_dwordx4 v[10:13], v[0:1], off
	global_load_dwordx4 v[104:107], v[14:15], off offset:3072
	v_add_co_u32_e32 v22, vcc, s10, v24
	v_lshl_add_u64 v[0:1], v[0:1], 0, s[4:5]
	s_nop 0
	v_addc_co_u32_e32 v23, vcc, 0, v25, vcc
	s_movk_i32 s10, 0x2000
	global_load_dwordx4 v[14:17], v[0:1], off
	global_load_dwordx4 v[108:111], v[22:23], off offset:128
	v_add_co_u32_e32 v32, vcc, s10, v24
	v_lshl_add_u64 v[0:1], v[0:1], 0, s[8:9]
	s_nop 0
	v_addc_co_u32_e32 v33, vcc, 0, v25, vcc
	global_load_dwordx4 v[116:119], v[32:33], off offset:768
	global_load_dwordx4 v[18:21], v[0:1], off
	v_lshl_add_u64 v[0:1], v[0:1], 0, s[4:5]
	global_load_dwordx4 v[80:83], v[0:1], off
	global_load_dwordx4 v[112:115], v[22:23], off offset:1920
	v_lshl_add_u64 v[0:1], v[0:1], 0, s[8:9]
	global_load_dwordx4 v[84:87], v[0:1], off
	global_load_dwordx4 v[120:123], v[32:33], off offset:2560
	;; [unrolled: 3-line block ×3, first 2 shown]
	s_load_dwordx2 s[12:13], s[0:1], 0x38
	s_load_dwordx4 s[8:11], s[6:7], 0x0
	v_cmp_gt_u16_e64 s[4:5], 56, v28
	s_waitcnt vmcnt(25)
	v_mul_f64 v[92:93], v[62:63], v[130:131]
	v_mul_f64 v[22:23], v[60:61], v[130:131]
	v_fmac_f64_e32 v[92:93], v[60:61], v[128:129]
	v_fma_f64 v[94:95], v[62:63], v[128:129], -v[22:23]
	s_waitcnt vmcnt(23)
	v_mul_f64 v[60:61], v[58:59], v[36:37]
	v_mul_f64 v[22:23], v[56:57], v[36:37]
	v_fmac_f64_e32 v[60:61], v[56:57], v[34:35]
	v_fma_f64 v[62:63], v[58:59], v[34:35], -v[22:23]
	s_waitcnt vmcnt(22)
	v_mul_f64 v[56:57], v[70:71], v[40:41]
	v_mul_f64 v[22:23], v[68:69], v[40:41]
	v_fmac_f64_e32 v[56:57], v[68:69], v[38:39]
	v_fma_f64 v[58:59], v[70:71], v[38:39], -v[22:23]
	ds_write_b128 v26, v[56:59] offset:1792
	s_waitcnt vmcnt(20)
	v_mul_f64 v[56:57], v[66:67], v[44:45]
	v_mul_f64 v[22:23], v[64:65], v[44:45]
	v_fmac_f64_e32 v[56:57], v[64:65], v[42:43]
	v_fma_f64 v[58:59], v[66:67], v[42:43], -v[22:23]
	ds_write_b128 v26, v[56:59] offset:15232
	s_waitcnt vmcnt(18)
	v_mul_f64 v[56:57], v[74:75], v[48:49]
	v_mul_f64 v[22:23], v[72:73], v[48:49]
	v_fmac_f64_e32 v[56:57], v[72:73], v[46:47]
	v_fma_f64 v[58:59], v[74:75], v[46:47], -v[22:23]
	;; [unrolled: 6-line block ×3, first 2 shown]
	ds_write_b128 v26, v[56:59] offset:17024
	s_waitcnt vmcnt(14)
	v_mul_f64 v[56:57], v[4:5], v[98:99]
	v_fmac_f64_e32 v[56:57], v[2:3], v[96:97]
	v_mul_f64 v[2:3], v[2:3], v[98:99]
	v_fma_f64 v[58:59], v[4:5], v[96:97], -v[2:3]
	s_waitcnt vmcnt(12)
	v_mul_f64 v[2:3], v[8:9], v[102:103]
	v_mul_f64 v[4:5], v[6:7], v[102:103]
	v_fmac_f64_e32 v[2:3], v[6:7], v[100:101]
	v_fma_f64 v[4:5], v[8:9], v[100:101], -v[4:5]
	ds_write_b128 v26, v[2:5] offset:18816
	s_waitcnt vmcnt(10)
	v_mul_f64 v[2:3], v[12:13], v[106:107]
	v_mul_f64 v[4:5], v[10:11], v[106:107]
	v_fmac_f64_e32 v[2:3], v[10:11], v[104:105]
	v_fma_f64 v[4:5], v[12:13], v[104:105], -v[4:5]
	ds_write_b128 v26, v[2:5] offset:7168
	;; [unrolled: 6-line block ×5, first 2 shown]
	s_waitcnt vmcnt(2)
	v_mul_f64 v[2:3], v[86:87], v[122:123]
	v_mul_f64 v[4:5], v[84:85], v[122:123]
	v_fmac_f64_e32 v[2:3], v[84:85], v[120:121]
	v_fma_f64 v[4:5], v[86:87], v[120:121], -v[4:5]
	v_accvgpr_write_b32 a52, v128
	v_accvgpr_write_b32 a0, v34
	;; [unrolled: 1-line block ×13, first 2 shown]
	ds_write_b128 v26, v[2:5] offset:10752
	s_waitcnt vmcnt(0)
	v_mul_f64 v[2:3], v[90:91], v[126:127]
	v_mul_f64 v[4:5], v[88:89], v[126:127]
	v_accvgpr_write_b32 a48, v124
	v_accvgpr_write_b32 a53, v129
	;; [unrolled: 1-line block ×40, first 2 shown]
	v_fmac_f64_e32 v[2:3], v[88:89], v[124:125]
	v_accvgpr_write_b32 a49, v125
	v_accvgpr_write_b32 a50, v126
	;; [unrolled: 1-line block ×3, first 2 shown]
	v_fma_f64 v[4:5], v[90:91], v[124:125], -v[4:5]
	ds_write_b128 v26, v[92:95]
	ds_write_b128 v26, v[60:63] offset:13440
	ds_write_b128 v26, v[56:59] offset:5376
	;; [unrolled: 1-line block ×3, first 2 shown]
	s_and_saveexec_b64 s[6:7], s[4:5]
	s_cbranch_execz .LBB0_3
; %bb.2:
	v_lshl_add_u64 v[8:9], s[16:17], 4, v[0:1]
	v_add_co_u32_e32 v4, vcc, 0x3000, v24
	global_load_dwordx4 v[0:3], v[8:9], off
	s_nop 0
	v_addc_co_u32_e32 v5, vcc, 0, v25, vcc
	v_lshl_add_u64 v[8:9], s[2:3], 4, v[8:9]
	s_movk_i32 s2, 0x6000
	v_add_co_u32_e32 v12, vcc, s2, v24
	global_load_dwordx4 v[4:7], v[4:5], off offset:256
	s_nop 0
	v_addc_co_u32_e32 v13, vcc, 0, v25, vcc
	global_load_dwordx4 v[8:11], v[8:9], off
	s_waitcnt vmcnt(1)
	v_mul_f64 v[16:17], v[2:3], v[6:7]
	global_load_dwordx4 v[12:15], v[12:13], off offset:1408
	v_mul_f64 v[18:19], v[0:1], v[6:7]
	v_fmac_f64_e32 v[16:17], v[0:1], v[4:5]
	v_fma_f64 v[18:19], v[2:3], v[4:5], -v[18:19]
	s_waitcnt vmcnt(0)
	v_mul_f64 v[6:7], v[10:11], v[14:15]
	v_mul_f64 v[14:15], v[8:9], v[14:15]
	v_fmac_f64_e32 v[6:7], v[8:9], v[12:13]
	v_fma_f64 v[8:9], v[10:11], v[12:13], -v[14:15]
	ds_write_b128 v26, v[16:19] offset:12544
	ds_write_b128 v26, v[6:9] offset:25984
.LBB0_3:
	s_or_b64 exec, exec, s[6:7]
	s_waitcnt lgkmcnt(0)
	s_barrier
	ds_read_b128 v[4:7], v26
	ds_read_b128 v[100:103], v26 offset:1792
	ds_read_b128 v[104:107], v26 offset:15232
	;; [unrolled: 1-line block ×13, first 2 shown]
                                        ; implicit-def: $vgpr0_vgpr1
                                        ; implicit-def: $vgpr68_vgpr69
	s_and_saveexec_b64 s[2:3], s[4:5]
	s_cbranch_execz .LBB0_5
; %bb.4:
	ds_read_b128 v[0:3], v26 offset:12544
	ds_read_b128 v[68:71], v26 offset:25984
.LBB0_5:
	s_or_b64 exec, exec, s[2:3]
	s_waitcnt lgkmcnt(11)
	v_add_f64 v[12:13], v[100:101], -v[104:105]
	s_waitcnt lgkmcnt(1)
	v_add_f64 v[72:73], v[64:65], -v[72:73]
	s_mov_b64 s[2:3], 0x70
	v_add_f64 v[8:9], v[4:5], -v[8:9]
	v_add_f64 v[10:11], v[6:7], -v[10:11]
	v_fma_f64 v[16:17], v[100:101], 2.0, -v[12:13]
	v_fma_f64 v[100:101], v[64:65], 2.0, -v[72:73]
	s_waitcnt lgkmcnt(0)
	v_add_f64 v[64:65], v[0:1], -v[68:69]
	v_lshl_add_u64 v[22:23], v[28:29], 0, s[2:3]
	s_mov_b64 s[2:3], 0xe0
	v_fma_f64 v[4:5], v[4:5], 2.0, -v[8:9]
	v_fma_f64 v[6:7], v[6:7], 2.0, -v[10:11]
	v_add_f64 v[14:15], v[102:103], -v[106:107]
	v_add_f64 v[104:105], v[56:57], -v[60:61]
	v_fma_f64 v[60:61], v[0:1], 2.0, -v[64:65]
	v_lshlrev_b32_e32 v0, 5, v28
	v_lshl_add_u64 v[20:21], v[28:29], 0, s[2:3]
	s_mov_b64 s[2:3], 0x150
	v_fma_f64 v[18:19], v[102:103], 2.0, -v[14:15]
	v_add_f64 v[96:97], v[92:93], -v[96:97]
	v_add_f64 v[98:99], v[94:95], -v[98:99]
	s_barrier
	ds_write_b128 v0, v[4:7]
	v_accvgpr_write_b32 a58, v0
	ds_write_b128 v0, v[8:11] offset:16
	v_lshlrev_b32_e32 v0, 5, v22
	v_lshl_add_u64 v[134:135], v[28:29], 0, s[2:3]
	s_mov_b64 s[2:3], 0x1c0
	v_fma_f64 v[92:93], v[92:93], 2.0, -v[96:97]
	v_fma_f64 v[94:95], v[94:95], 2.0, -v[98:99]
	v_add_f64 v[88:89], v[84:85], -v[88:89]
	v_add_f64 v[90:91], v[86:87], -v[90:91]
	ds_write_b128 v0, v[16:19]
	v_accvgpr_write_b32 a60, v0
	ds_write_b128 v0, v[12:15] offset:16
	v_lshlrev_b32_e32 v0, 5, v20
	s_load_dwordx2 s[0:1], s[0:1], 0x8
	v_lshl_add_u64 v[132:133], v[28:29], 0, s[2:3]
	v_lshlrev_b32_e32 v21, 1, v28
	v_fma_f64 v[84:85], v[84:85], 2.0, -v[88:89]
	v_fma_f64 v[86:87], v[86:87], 2.0, -v[90:91]
	v_add_f64 v[80:81], v[76:77], -v[80:81]
	v_add_f64 v[82:83], v[78:79], -v[82:83]
	ds_write_b128 v0, v[92:95]
	v_accvgpr_write_b32 a62, v0
	ds_write_b128 v0, v[96:99] offset:16
	v_lshlrev_b32_e32 v0, 5, v134
	s_mov_b64 s[2:3], 0x310
	v_fma_f64 v[76:77], v[76:77], 2.0, -v[80:81]
	v_fma_f64 v[78:79], v[78:79], 2.0, -v[82:83]
	v_add_f64 v[74:75], v[66:67], -v[74:75]
	v_add_f64 v[106:107], v[58:59], -v[62:63]
	ds_write_b128 v0, v[84:87]
	v_accvgpr_write_b32 a63, v0
	ds_write_b128 v0, v[88:91] offset:16
	v_lshlrev_b32_e32 v0, 5, v132
	v_add_u32_e32 v23, 0x460, v21
	v_lshl_add_u64 v[108:109], v[28:29], 0, s[2:3]
	v_fma_f64 v[102:103], v[66:67], 2.0, -v[74:75]
	v_fma_f64 v[56:57], v[56:57], 2.0, -v[104:105]
	;; [unrolled: 1-line block ×3, first 2 shown]
	ds_write_b128 v0, v[76:79]
	v_accvgpr_write_b32 a64, v0
	ds_write_b128 v0, v[80:83] offset:16
	v_lshlrev_b32_e32 v1, 4, v23
	v_lshlrev_b32_e32 v0, 4, v21
	v_add_u32_e32 v31, 0x540, v21
	v_add_f64 v[66:67], v[2:3], -v[70:71]
	ds_write_b128 v0, v[100:103] offset:17920
	v_accvgpr_write_b32 a65, v1
	ds_write_b128 v1, v[72:75] offset:16
	v_lshlrev_b32_e32 v1, 4, v31
	ds_write_b128 v0, v[56:59] offset:21504
	v_lshlrev_b32_e32 v0, 5, v108
	v_fma_f64 v[62:63], v[2:3], 2.0, -v[66:67]
	v_lshlrev_b32_e32 v133, 1, v22
	v_lshlrev_b32_e32 v135, 1, v20
	;; [unrolled: 1-line block ×4, first 2 shown]
	v_accvgpr_write_b32 a66, v1
	v_accvgpr_write_b32 a59, v0
	ds_write_b128 v1, v[104:107] offset:16
	s_and_saveexec_b64 s[2:3], s[4:5]
	s_cbranch_execz .LBB0_7
; %bb.6:
	v_accvgpr_read_b32 v0, a59
	ds_write_b128 v0, v[60:63]
	ds_write_b128 v0, v[64:67] offset:16
.LBB0_7:
	s_or_b64 exec, exec, s[2:3]
	s_waitcnt lgkmcnt(0)
	s_barrier
	ds_read_b128 v[88:91], v26
	ds_read_b128 v[80:83], v26 offset:1792
	ds_read_b128 v[16:19], v26 offset:15232
	ds_read_b128 v[96:99], v26 offset:17024
	ds_read_b128 v[84:87], v26 offset:3584
	ds_read_b128 v[72:75], v26 offset:5376
	ds_read_b128 v[12:15], v26 offset:18816
	ds_read_b128 v[8:11], v26 offset:20608
	ds_read_b128 v[76:79], v26 offset:7168
	ds_read_b128 v[68:71], v26 offset:8960
	ds_read_b128 v[100:103], v26 offset:13440
	ds_read_b128 v[0:3], v26 offset:10752
	ds_read_b128 v[92:95], v26 offset:22400
	ds_read_b128 v[4:7], v26 offset:24192
	s_and_saveexec_b64 s[2:3], s[4:5]
	s_cbranch_execz .LBB0_9
; %bb.8:
	ds_read_b128 v[60:63], v26 offset:12544
	ds_read_b128 v[64:67], v26 offset:25984
.LBB0_9:
	s_or_b64 exec, exec, s[2:3]
	v_and_b32_e32 v109, 1, v28
	v_lshlrev_b32_e32 v27, 4, v109
	global_load_dwordx4 v[56:59], v27, s[0:1]
	s_movk_i32 s2, 0xfc
	s_waitcnt lgkmcnt(0)
	s_barrier
	s_movk_i32 s3, 0x5fc
	v_accvgpr_write_b32 a57, v109
	s_waitcnt vmcnt(0)
	v_mul_f64 v[36:37], v[18:19], v[58:59]
	v_fma_f64 v[36:37], v[16:17], v[56:57], -v[36:37]
	v_mul_f64 v[16:17], v[16:17], v[58:59]
	v_fmac_f64_e32 v[16:17], v[18:19], v[56:57]
	v_mul_f64 v[18:19], v[98:99], v[58:59]
	v_fma_f64 v[38:39], v[96:97], v[56:57], -v[18:19]
	v_mul_f64 v[18:19], v[14:15], v[58:59]
	v_fma_f64 v[42:43], v[12:13], v[56:57], -v[18:19]
	v_mul_f64 v[44:45], v[12:13], v[58:59]
	v_mul_f64 v[12:13], v[10:11], v[58:59]
	v_fma_f64 v[46:47], v[8:9], v[56:57], -v[12:13]
	v_mul_f64 v[48:49], v[8:9], v[58:59]
	v_mul_f64 v[8:9], v[94:95], v[58:59]
	;; [unrolled: 1-line block ×3, first 2 shown]
	v_fma_f64 v[50:51], v[92:93], v[56:57], -v[8:9]
	v_mul_f64 v[8:9], v[6:7], v[58:59]
	v_fma_f64 v[32:33], v[100:101], v[56:57], -v[32:33]
	v_fma_f64 v[54:55], v[4:5], v[56:57], -v[8:9]
	v_mul_f64 v[114:115], v[4:5], v[58:59]
	v_mul_f64 v[4:5], v[66:67], v[58:59]
	;; [unrolled: 1-line block ×4, first 2 shown]
	v_fma_f64 v[116:117], v[64:65], v[56:57], -v[4:5]
	v_add_f64 v[4:5], v[88:89], -v[32:33]
	v_add_f64 v[96:97], v[72:73], -v[42:43]
	v_fmac_f64_e32 v[34:35], v[102:103], v[56:57]
	v_fma_f64 v[8:9], v[88:89], 2.0, -v[4:5]
	v_fma_f64 v[100:101], v[72:73], 2.0, -v[96:97]
	v_add_f64 v[88:89], v[76:77], -v[46:47]
	v_add_f64 v[72:73], v[0:1], -v[54:55]
	v_mul_f64 v[52:53], v[92:93], v[58:59]
	v_fmac_f64_e32 v[114:115], v[6:7], v[56:57]
	v_add_f64 v[6:7], v[90:91], -v[34:35]
	v_fma_f64 v[92:93], v[76:77], 2.0, -v[88:89]
	v_fma_f64 v[76:77], v[0:1], 2.0, -v[72:73]
	v_and_or_b32 v0, v21, s2, v109
	v_fmac_f64_e32 v[48:49], v[10:11], v[56:57]
	v_fma_f64 v[10:11], v[90:91], 2.0, -v[6:7]
	v_lshlrev_b32_e32 v0, 4, v0
	s_movk_i32 s2, 0x1fc
	v_fmac_f64_e32 v[44:45], v[14:15], v[56:57]
	v_add_f64 v[12:13], v[80:81], -v[36:37]
	v_add_f64 v[14:15], v[82:83], -v[16:17]
	ds_write_b128 v0, v[8:11]
	v_accvgpr_write_b32 a67, v0
	ds_write_b128 v0, v[4:7] offset:32
	v_and_or_b32 v0, v133, s2, v109
	v_fmac_f64_e32 v[40:41], v[98:99], v[56:57]
	v_fma_f64 v[16:17], v[80:81], 2.0, -v[12:13]
	v_fma_f64 v[18:19], v[82:83], 2.0, -v[14:15]
	v_lshlrev_b32_e32 v0, 4, v0
	s_movk_i32 s2, 0x3fc
	v_add_f64 v[104:105], v[84:85], -v[38:39]
	v_add_f64 v[106:107], v[86:87], -v[40:41]
	ds_write_b128 v0, v[16:19]
	v_accvgpr_write_b32 a68, v0
	ds_write_b128 v0, v[12:15] offset:32
	v_and_or_b32 v0, v135, s2, v109
	v_fma_f64 v[110:111], v[84:85], 2.0, -v[104:105]
	v_fma_f64 v[112:113], v[86:87], 2.0, -v[106:107]
	v_lshlrev_b32_e32 v0, 4, v0
	v_add_f64 v[98:99], v[74:75], -v[44:45]
	ds_write_b128 v0, v[110:113]
	v_accvgpr_write_b32 a69, v0
	ds_write_b128 v0, v[104:107] offset:32
	v_and_or_b32 v0, v136, s2, v109
	v_fma_f64 v[102:103], v[74:75], 2.0, -v[98:99]
	v_lshlrev_b32_e32 v0, 4, v0
	s_movk_i32 s2, 0x7fc
	v_add_f64 v[90:91], v[78:79], -v[48:49]
	ds_write_b128 v0, v[100:103]
	v_accvgpr_write_b32 a70, v0
	ds_write_b128 v0, v[96:99] offset:32
	v_and_or_b32 v0, v29, s2, v109
	v_fmac_f64_e32 v[52:53], v[94:95], v[56:57]
	v_fma_f64 v[94:95], v[78:79], 2.0, -v[90:91]
	v_lshlrev_b32_e32 v0, 4, v0
	v_add_f64 v[80:81], v[68:69], -v[50:51]
	v_add_f64 v[82:83], v[70:71], -v[52:53]
	ds_write_b128 v0, v[92:95]
	v_accvgpr_write_b32 a71, v0
	ds_write_b128 v0, v[88:91] offset:32
	v_and_or_b32 v0, v23, s3, v109
	v_fma_f64 v[84:85], v[68:69], 2.0, -v[80:81]
	v_fma_f64 v[86:87], v[70:71], 2.0, -v[82:83]
	v_lshlrev_b32_e32 v0, 4, v0
	v_mul_f64 v[64:65], v[64:65], v[58:59]
	v_add_f64 v[74:75], v[2:3], -v[114:115]
	ds_write_b128 v0, v[84:87]
	v_accvgpr_write_b32 a72, v0
	ds_write_b128 v0, v[80:83] offset:32
	v_and_or_b32 v0, v31, s2, v109
	v_fmac_f64_e32 v[64:65], v[66:67], v[56:57]
	v_fma_f64 v[78:79], v[2:3], 2.0, -v[74:75]
	v_lshlrev_b32_e32 v0, 4, v0
	v_add_f64 v[68:69], v[60:61], -v[116:117]
	v_add_f64 v[70:71], v[62:63], -v[64:65]
	ds_write_b128 v0, v[76:79]
	v_accvgpr_write_b32 a73, v0
	ds_write_b128 v0, v[72:75] offset:32
	v_lshlrev_b32_e32 v0, 1, v108
	v_fma_f64 v[64:65], v[60:61], 2.0, -v[68:69]
	v_fma_f64 v[66:67], v[62:63], 2.0, -v[70:71]
	v_accvgpr_write_b32 a56, v0
	s_and_saveexec_b64 s[2:3], s[4:5]
	s_cbranch_execz .LBB0_11
; %bb.10:
	s_movk_i32 s6, 0x6fc
	v_accvgpr_read_b32 v0, a56
	v_accvgpr_read_b32 v1, a57
	v_and_or_b32 v0, v0, s6, v1
	v_lshlrev_b32_e32 v0, 4, v0
	ds_write_b128 v0, v[64:67]
	ds_write_b128 v0, v[68:71] offset:32
.LBB0_11:
	s_or_b64 exec, exec, s[2:3]
	s_waitcnt lgkmcnt(0)
	s_barrier
	ds_read_b128 v[92:95], v26
	ds_read_b128 v[84:87], v26 offset:1792
	ds_read_b128 v[16:19], v26 offset:15232
	;; [unrolled: 1-line block ×13, first 2 shown]
	s_and_saveexec_b64 s[2:3], s[4:5]
	s_cbranch_execz .LBB0_13
; %bb.12:
	ds_read_b128 v[64:67], v26 offset:12544
	ds_read_b128 v[68:71], v26 offset:25984
.LBB0_13:
	s_or_b64 exec, exec, s[2:3]
	v_and_b32_e32 v120, 3, v28
	v_lshlrev_b32_e32 v27, 4, v120
	global_load_dwordx4 v[60:63], v27, s[0:1] offset:32
	s_movk_i32 s2, 0xf8
	s_waitcnt lgkmcnt(0)
	s_barrier
	s_movk_i32 s3, 0x5f8
	v_accvgpr_write_b32 a61, v120
	s_waitcnt vmcnt(0)
	v_mul_f64 v[36:37], v[18:19], v[62:63]
	v_fma_f64 v[36:37], v[16:17], v[60:61], -v[36:37]
	v_mul_f64 v[16:17], v[16:17], v[62:63]
	v_fmac_f64_e32 v[16:17], v[18:19], v[60:61]
	v_mul_f64 v[18:19], v[102:103], v[62:63]
	v_fma_f64 v[38:39], v[100:101], v[60:61], -v[18:19]
	v_mul_f64 v[18:19], v[14:15], v[62:63]
	v_fma_f64 v[42:43], v[12:13], v[60:61], -v[18:19]
	v_mul_f64 v[44:45], v[12:13], v[62:63]
	v_mul_f64 v[12:13], v[10:11], v[62:63]
	v_fma_f64 v[46:47], v[8:9], v[60:61], -v[12:13]
	v_mul_f64 v[48:49], v[8:9], v[62:63]
	v_mul_f64 v[8:9], v[98:99], v[62:63]
	;; [unrolled: 1-line block ×3, first 2 shown]
	v_fma_f64 v[50:51], v[96:97], v[60:61], -v[8:9]
	v_mul_f64 v[8:9], v[6:7], v[62:63]
	v_fma_f64 v[32:33], v[104:105], v[60:61], -v[32:33]
	v_fma_f64 v[54:55], v[4:5], v[60:61], -v[8:9]
	v_mul_f64 v[116:117], v[4:5], v[62:63]
	v_mul_f64 v[4:5], v[70:71], v[62:63]
	;; [unrolled: 1-line block ×4, first 2 shown]
	v_fma_f64 v[118:119], v[68:69], v[60:61], -v[4:5]
	v_add_f64 v[4:5], v[92:93], -v[32:33]
	v_add_f64 v[100:101], v[76:77], -v[42:43]
	v_fmac_f64_e32 v[34:35], v[106:107], v[60:61]
	v_fma_f64 v[8:9], v[92:93], 2.0, -v[4:5]
	v_fma_f64 v[104:105], v[76:77], 2.0, -v[100:101]
	v_add_f64 v[92:93], v[80:81], -v[46:47]
	v_add_f64 v[76:77], v[0:1], -v[54:55]
	v_mul_f64 v[52:53], v[96:97], v[62:63]
	v_fmac_f64_e32 v[116:117], v[6:7], v[60:61]
	v_add_f64 v[6:7], v[94:95], -v[34:35]
	v_fma_f64 v[96:97], v[80:81], 2.0, -v[92:93]
	v_fma_f64 v[80:81], v[0:1], 2.0, -v[76:77]
	v_and_or_b32 v0, v21, s2, v120
	v_fmac_f64_e32 v[48:49], v[10:11], v[60:61]
	v_fma_f64 v[10:11], v[94:95], 2.0, -v[6:7]
	v_lshlrev_b32_e32 v0, 4, v0
	s_movk_i32 s2, 0x1f8
	v_fmac_f64_e32 v[44:45], v[14:15], v[60:61]
	v_add_f64 v[12:13], v[84:85], -v[36:37]
	v_add_f64 v[14:15], v[86:87], -v[16:17]
	ds_write_b128 v0, v[8:11]
	v_accvgpr_write_b32 a74, v0
	ds_write_b128 v0, v[4:7] offset:64
	v_and_or_b32 v0, v133, s2, v120
	v_fmac_f64_e32 v[40:41], v[102:103], v[60:61]
	v_fma_f64 v[16:17], v[84:85], 2.0, -v[12:13]
	v_fma_f64 v[18:19], v[86:87], 2.0, -v[14:15]
	v_lshlrev_b32_e32 v0, 4, v0
	s_movk_i32 s2, 0x3f8
	v_add_f64 v[108:109], v[88:89], -v[38:39]
	v_add_f64 v[110:111], v[90:91], -v[40:41]
	ds_write_b128 v0, v[16:19]
	v_accvgpr_write_b32 a75, v0
	ds_write_b128 v0, v[12:15] offset:64
	v_and_or_b32 v0, v135, s2, v120
	v_fma_f64 v[112:113], v[88:89], 2.0, -v[108:109]
	v_fma_f64 v[114:115], v[90:91], 2.0, -v[110:111]
	v_lshlrev_b32_e32 v0, 4, v0
	v_add_f64 v[102:103], v[78:79], -v[44:45]
	ds_write_b128 v0, v[112:115]
	v_accvgpr_write_b32 a76, v0
	ds_write_b128 v0, v[108:111] offset:64
	v_and_or_b32 v0, v136, s2, v120
	v_fma_f64 v[106:107], v[78:79], 2.0, -v[102:103]
	v_lshlrev_b32_e32 v0, 4, v0
	s_movk_i32 s2, 0x7f8
	v_add_f64 v[94:95], v[82:83], -v[48:49]
	ds_write_b128 v0, v[104:107]
	v_accvgpr_write_b32 a77, v0
	ds_write_b128 v0, v[100:103] offset:64
	v_and_or_b32 v0, v29, s2, v120
	v_fmac_f64_e32 v[52:53], v[98:99], v[60:61]
	v_fma_f64 v[98:99], v[82:83], 2.0, -v[94:95]
	v_lshlrev_b32_e32 v0, 4, v0
	v_add_f64 v[84:85], v[72:73], -v[50:51]
	v_add_f64 v[86:87], v[74:75], -v[52:53]
	ds_write_b128 v0, v[96:99]
	v_accvgpr_write_b32 a78, v0
	ds_write_b128 v0, v[92:95] offset:64
	v_and_or_b32 v0, v23, s3, v120
	v_mul_f64 v[68:69], v[68:69], v[62:63]
	v_fma_f64 v[88:89], v[72:73], 2.0, -v[84:85]
	v_fma_f64 v[90:91], v[74:75], 2.0, -v[86:87]
	v_lshlrev_b32_e32 v0, 4, v0
	v_fmac_f64_e32 v[68:69], v[70:71], v[60:61]
	ds_write_b128 v0, v[88:91]
	v_accvgpr_write_b32 a79, v0
	ds_write_b128 v0, v[84:87] offset:64
	v_and_or_b32 v0, v31, s2, v120
	v_add_f64 v[78:79], v[2:3], -v[116:117]
	v_add_f64 v[72:73], v[64:65], -v[118:119]
	;; [unrolled: 1-line block ×3, first 2 shown]
	v_lshlrev_b32_e32 v0, 4, v0
	v_fma_f64 v[82:83], v[2:3], 2.0, -v[78:79]
	v_fma_f64 v[68:69], v[64:65], 2.0, -v[72:73]
	;; [unrolled: 1-line block ×3, first 2 shown]
	v_accvgpr_write_b32 a80, v0
	ds_write_b128 v0, v[80:83]
	ds_write_b128 v0, v[76:79] offset:64
	s_and_saveexec_b64 s[2:3], s[4:5]
	s_cbranch_execz .LBB0_15
; %bb.14:
	s_movk_i32 s6, 0x6f8
	v_accvgpr_read_b32 v0, a56
	v_accvgpr_read_b32 v1, a61
	v_and_or_b32 v0, v0, s6, v1
	v_lshlrev_b32_e32 v0, 4, v0
	ds_write_b128 v0, v[68:71]
	ds_write_b128 v0, v[72:75] offset:64
.LBB0_15:
	s_or_b64 exec, exec, s[2:3]
	s_waitcnt lgkmcnt(0)
	s_barrier
	ds_read_b128 v[76:79], v26
	ds_read_b128 v[80:83], v26 offset:1792
	ds_read_b128 v[92:95], v26 offset:15232
	;; [unrolled: 1-line block ×13, first 2 shown]
	s_and_saveexec_b64 s[2:3], s[4:5]
	s_cbranch_execz .LBB0_17
; %bb.16:
	ds_read_b128 v[68:71], v26 offset:12544
	ds_read_b128 v[72:75], v26 offset:25984
.LBB0_17:
	s_or_b64 exec, exec, s[2:3]
	v_and_b32_e32 v27, 7, v28
	v_lshlrev_b32_e32 v0, 4, v27
	global_load_dwordx4 v[64:67], v0, s[0:1] offset:96
	s_movk_i32 s2, 0xf0
	s_movk_i32 s3, 0x1f0
	;; [unrolled: 1-line block ×3, first 2 shown]
	v_and_or_b32 v0, v21, s2, v27
	v_and_or_b32 v1, v133, s3, v27
	;; [unrolled: 1-line block ×4, first 2 shown]
	v_lshlrev_b32_e32 v46, 4, v0
	v_lshlrev_b32_e32 v45, 4, v1
	;; [unrolled: 1-line block ×4, first 2 shown]
	s_movk_i32 s2, 0x7f0
	s_waitcnt lgkmcnt(0)
	s_barrier
	s_movk_i32 s3, 0x5f0
	v_accvgpr_write_b32 a84, v46
	v_accvgpr_write_b32 a83, v45
	;; [unrolled: 1-line block ×4, first 2 shown]
	s_waitcnt vmcnt(0)
	v_mul_f64 v[0:1], v[130:131], v[66:67]
	v_mul_f64 v[2:3], v[128:129], v[66:67]
	;; [unrolled: 1-line block ×4, first 2 shown]
	v_fma_f64 v[0:1], v[128:129], v[64:65], -v[0:1]
	v_fmac_f64_e32 v[2:3], v[130:131], v[64:65]
	v_mul_f64 v[4:5], v[94:95], v[66:67]
	v_mul_f64 v[6:7], v[92:93], v[66:67]
	;; [unrolled: 1-line block ×6, first 2 shown]
	v_fma_f64 v[16:17], v[116:117], v[64:65], -v[16:17]
	v_fmac_f64_e32 v[18:19], v[118:119], v[64:65]
	v_add_f64 v[0:1], v[76:77], -v[0:1]
	v_add_f64 v[2:3], v[78:79], -v[2:3]
	v_mul_f64 v[32:33], v[126:127], v[66:67]
	v_mul_f64 v[34:35], v[124:125], v[66:67]
	v_fma_f64 v[4:5], v[92:93], v[64:65], -v[4:5]
	v_fmac_f64_e32 v[6:7], v[94:95], v[64:65]
	v_fma_f64 v[8:9], v[108:109], v[64:65], -v[8:9]
	v_fmac_f64_e32 v[10:11], v[110:111], v[64:65]
	;; [unrolled: 2-line block ×3, first 2 shown]
	v_add_f64 v[16:17], v[100:101], -v[16:17]
	v_add_f64 v[18:19], v[102:103], -v[18:19]
	v_fma_f64 v[76:77], v[76:77], 2.0, -v[0:1]
	ds_write_b128 v46, v[0:3] offset:128
	v_and_or_b32 v0, v29, s2, v27
	v_mul_f64 v[40:41], v[74:75], v[66:67]
	v_mul_f64 v[42:43], v[72:73], v[66:67]
	v_fma_f64 v[32:33], v[124:125], v[64:65], -v[32:33]
	v_fmac_f64_e32 v[34:35], v[126:127], v[64:65]
	v_add_f64 v[4:5], v[80:81], -v[4:5]
	v_add_f64 v[6:7], v[82:83], -v[6:7]
	v_add_f64 v[8:9], v[88:89], -v[8:9]
	v_add_f64 v[10:11], v[90:91], -v[10:11]
	v_add_f64 v[12:13], v[84:85], -v[12:13]
	v_add_f64 v[14:15], v[86:87], -v[14:15]
	v_fma_f64 v[78:79], v[78:79], 2.0, -v[2:3]
	v_fma_f64 v[100:101], v[100:101], 2.0, -v[16:17]
	;; [unrolled: 1-line block ×3, first 2 shown]
	v_lshlrev_b32_e32 v0, 4, v0
	v_fma_f64 v[40:41], v[72:73], v[64:65], -v[40:41]
	v_fmac_f64_e32 v[42:43], v[74:75], v[64:65]
	v_add_f64 v[72:73], v[96:97], -v[32:33]
	v_add_f64 v[74:75], v[98:99], -v[34:35]
	v_fma_f64 v[80:81], v[80:81], 2.0, -v[4:5]
	v_fma_f64 v[82:83], v[82:83], 2.0, -v[6:7]
	v_fma_f64 v[88:89], v[88:89], 2.0, -v[8:9]
	v_fma_f64 v[90:91], v[90:91], 2.0, -v[10:11]
	v_fma_f64 v[84:85], v[84:85], 2.0, -v[12:13]
	v_fma_f64 v[86:87], v[86:87], 2.0, -v[14:15]
	ds_write_b128 v46, v[76:79]
	ds_write_b128 v45, v[80:83]
	ds_write_b128 v45, v[4:7] offset:128
	ds_write_b128 v44, v[88:91]
	ds_write_b128 v44, v[8:11] offset:128
	;; [unrolled: 2-line block ×3, first 2 shown]
	ds_write_b128 v0, v[100:103]
	v_accvgpr_write_b32 a85, v0
	ds_write_b128 v0, v[16:19] offset:128
	v_and_or_b32 v0, v23, s3, v27
	v_mul_f64 v[36:37], v[122:123], v[66:67]
	v_mul_f64 v[38:39], v[120:121], v[66:67]
	v_fma_f64 v[96:97], v[96:97], 2.0, -v[72:73]
	v_fma_f64 v[98:99], v[98:99], 2.0, -v[74:75]
	v_lshlrev_b32_e32 v0, 4, v0
	v_fma_f64 v[36:37], v[120:121], v[64:65], -v[36:37]
	v_fmac_f64_e32 v[38:39], v[122:123], v[64:65]
	ds_write_b128 v0, v[96:99]
	v_accvgpr_write_b32 a86, v0
	ds_write_b128 v0, v[72:75] offset:128
	v_and_or_b32 v0, v31, s2, v27
	v_add_f64 v[108:109], v[104:105], -v[36:37]
	v_add_f64 v[110:111], v[106:107], -v[38:39]
	v_lshlrev_b32_e32 v0, 4, v0
	v_add_f64 v[92:93], v[68:69], -v[40:41]
	v_add_f64 v[94:95], v[70:71], -v[42:43]
	v_fma_f64 v[104:105], v[104:105], 2.0, -v[108:109]
	v_fma_f64 v[106:107], v[106:107], 2.0, -v[110:111]
	v_accvgpr_write_b32 a87, v0
	ds_write_b128 v0, v[104:107]
	ds_write_b128 v0, v[108:111] offset:128
	s_and_saveexec_b64 s[2:3], s[4:5]
	s_cbranch_execz .LBB0_19
; %bb.18:
	s_movk_i32 s6, 0x6f0
	v_accvgpr_read_b32 v4, a56
	v_and_or_b32 v4, v4, s6, v27
	v_fma_f64 v[2:3], v[70:71], 2.0, -v[94:95]
	v_fma_f64 v[0:1], v[68:69], 2.0, -v[92:93]
	v_lshlrev_b32_e32 v4, 4, v4
	ds_write_b128 v4, v[0:3]
	ds_write_b128 v4, v[92:95] offset:128
.LBB0_19:
	s_or_b64 exec, exec, s[2:3]
	v_and_b32_e32 v21, 15, v28
	v_lshlrev_b32_e32 v0, 5, v21
	s_waitcnt lgkmcnt(0)
	s_barrier
	global_load_dwordx4 v[72:75], v0, s[0:1] offset:224
	global_load_dwordx4 v[68:71], v0, s[0:1] offset:240
	ds_read_b128 v[88:91], v26
	ds_read_b128 v[84:87], v26 offset:1792
	ds_read_b128 v[0:3], v26 offset:17920
	;; [unrolled: 1-line block ×14, first 2 shown]
	v_lshrrev_b32_e32 v23, 4, v28
	v_mul_u32_u24_e32 v23, 48, v23
	s_mov_b32 s2, 0xe8584caa
	v_or_b32_e32 v23, v23, v21
	s_mov_b32 s3, 0x3febb67a
	s_mov_b32 s7, 0xbfebb67a
	;; [unrolled: 1-line block ×3, first 2 shown]
	v_lshlrev_b32_e32 v23, 4, v23
	s_waitcnt lgkmcnt(0)
	s_barrier
	v_accvgpr_write_b32 a92, v23
                                        ; implicit-def: $vgpr168_vgpr169
                                        ; implicit-def: $vgpr172_vgpr173
                                        ; implicit-def: $vgpr160_vgpr161
                                        ; implicit-def: $vgpr164_vgpr165
	s_waitcnt vmcnt(1)
	v_mul_f64 v[32:33], v[102:103], v[74:75]
	v_mul_f64 v[34:35], v[100:101], v[74:75]
	s_waitcnt vmcnt(0)
	v_mul_f64 v[36:37], v[2:3], v[70:71]
	v_mul_f64 v[38:39], v[0:1], v[70:71]
	;; [unrolled: 1-line block ×9, first 2 shown]
	v_fma_f64 v[32:33], v[100:101], v[72:73], -v[32:33]
	v_fmac_f64_e32 v[34:35], v[102:103], v[72:73]
	v_fma_f64 v[0:1], v[0:1], v[68:69], -v[36:37]
	v_fmac_f64_e32 v[38:39], v[2:3], v[68:69]
	v_fma_f64 v[36:37], v[8:9], v[72:73], -v[40:41]
	v_fma_f64 v[40:41], v[4:5], v[68:69], -v[44:45]
	v_mul_f64 v[54:55], v[16:17], v[70:71]
	v_fmac_f64_e32 v[42:43], v[10:11], v[72:73]
	v_fmac_f64_e32 v[46:47], v[6:7], v[68:69]
	v_fma_f64 v[44:45], v[12:13], v[72:73], -v[48:49]
	v_fmac_f64_e32 v[50:51], v[14:15], v[72:73]
	v_fma_f64 v[48:49], v[16:17], v[68:69], -v[52:53]
	v_add_f64 v[2:3], v[88:89], v[32:33]
	v_add_f64 v[4:5], v[32:33], v[0:1]
	;; [unrolled: 1-line block ×6, first 2 shown]
	v_fmac_f64_e32 v[54:55], v[18:19], v[68:69]
	v_add_f64 v[6:7], v[34:35], -v[38:39]
	v_add_f64 v[12:13], v[32:33], -v[0:1]
	v_add_f64 v[18:19], v[42:43], -v[46:47]
	v_add_f64 v[0:1], v[2:3], v[0:1]
	v_fmac_f64_e32 v[88:89], -0.5, v[4:5]
	v_add_f64 v[2:3], v[8:9], v[38:39]
	v_fmac_f64_e32 v[90:91], -0.5, v[10:11]
	;; [unrolled: 2-line block ×3, first 2 shown]
	v_add_f64 v[14:15], v[42:43], v[46:47]
	v_fma_f64 v[8:9], s[2:3], v[6:7], v[88:89]
	v_fmac_f64_e32 v[88:89], s[6:7], v[6:7]
	v_fma_f64 v[10:11], s[6:7], v[12:13], v[90:91]
	v_fmac_f64_e32 v[90:91], s[2:3], v[12:13]
	;; [unrolled: 2-line block ×3, first 2 shown]
	v_add_f64 v[6:7], v[86:87], v[42:43]
	v_fmac_f64_e32 v[86:87], -0.5, v[14:15]
	v_add_f64 v[16:17], v[36:37], -v[40:41]
	v_add_f64 v[18:19], v[44:45], v[48:49]
	ds_write_b128 v23, v[0:3]
	ds_write_b128 v23, v[8:11] offset:256
	v_lshrrev_b32_e32 v0, 4, v22
	v_mul_f64 v[116:117], v[106:107], v[74:75]
	v_mul_f64 v[118:119], v[104:105], v[74:75]
	;; [unrolled: 1-line block ×3, first 2 shown]
	v_fma_f64 v[14:15], s[6:7], v[16:17], v[86:87]
	v_fmac_f64_e32 v[86:87], s[2:3], v[16:17]
	v_add_f64 v[16:17], v[80:81], v[44:45]
	v_fmac_f64_e32 v[80:81], -0.5, v[18:19]
	v_add_f64 v[18:19], v[50:51], -v[54:55]
	v_add_f64 v[32:33], v[50:51], v[54:55]
	v_mul_u32_u24_e32 v0, 48, v0
	v_mul_f64 v[122:123], v[96:97], v[70:71]
	v_fma_f64 v[52:53], v[104:105], v[72:73], -v[116:117]
	v_fmac_f64_e32 v[118:119], v[106:107], v[72:73]
	v_fma_f64 v[106:107], v[96:97], v[68:69], -v[120:121]
	v_fma_f64 v[96:97], s[2:3], v[18:19], v[80:81]
	v_fmac_f64_e32 v[80:81], s[6:7], v[18:19]
	v_add_f64 v[18:19], v[82:83], v[50:51]
	v_fmac_f64_e32 v[82:83], -0.5, v[32:33]
	v_add_f64 v[32:33], v[44:45], -v[48:49]
	v_or_b32_e32 v0, v0, v21
	v_fmac_f64_e32 v[122:123], v[98:99], v[68:69]
	v_add_f64 v[6:7], v[6:7], v[46:47]
	v_fma_f64 v[98:99], s[6:7], v[32:33], v[82:83]
	v_fmac_f64_e32 v[82:83], s[2:3], v[32:33]
	v_add_f64 v[32:33], v[76:77], v[52:53]
	v_lshlrev_b32_e32 v0, 4, v0
	v_add_f64 v[100:101], v[32:33], v[106:107]
	v_add_f64 v[32:33], v[52:53], v[106:107]
	ds_write_b128 v23, v[88:91] offset:512
	ds_write_b128 v0, v[4:7]
	ds_write_b128 v0, v[12:15] offset:256
	v_accvgpr_write_b32 a93, v0
	ds_write_b128 v0, v[84:87] offset:512
	v_lshrrev_b32_e32 v0, 4, v20
	v_fmac_f64_e32 v[76:77], -0.5, v[32:33]
	v_add_f64 v[32:33], v[118:119], -v[122:123]
	v_mul_u32_u24_e32 v0, 48, v0
	v_fma_f64 v[104:105], s[2:3], v[32:33], v[76:77]
	v_fmac_f64_e32 v[76:77], s[6:7], v[32:33]
	v_add_f64 v[32:33], v[78:79], v[118:119]
	v_or_b32_e32 v0, v0, v21
	v_mul_f64 v[124:125], v[110:111], v[74:75]
	v_add_f64 v[16:17], v[16:17], v[48:49]
	v_add_f64 v[18:19], v[18:19], v[54:55]
	;; [unrolled: 1-line block ×4, first 2 shown]
	v_lshlrev_b32_e32 v0, 4, v0
	v_mul_f64 v[128:129], v[114:115], v[70:71]
	v_fma_f64 v[116:117], v[108:109], v[72:73], -v[124:125]
	v_fmac_f64_e32 v[78:79], -0.5, v[32:33]
	v_add_f64 v[32:33], v[52:53], -v[106:107]
	ds_write_b128 v0, v[16:19]
	ds_write_b128 v0, v[96:99] offset:256
	v_accvgpr_write_b32 a94, v0
	ds_write_b128 v0, v[80:83] offset:512
	v_lshrrev_b32_e32 v0, 4, v134
	v_mul_f64 v[126:127], v[108:109], v[74:75]
	v_mul_f64 v[130:131], v[112:113], v[70:71]
	v_fma_f64 v[120:121], v[112:113], v[68:69], -v[128:129]
	v_fma_f64 v[106:107], s[6:7], v[32:33], v[78:79]
	v_fmac_f64_e32 v[78:79], s[2:3], v[32:33]
	v_add_f64 v[32:33], v[148:149], v[116:117]
	v_mul_u32_u24_e32 v0, 48, v0
	v_fmac_f64_e32 v[126:127], v[110:111], v[72:73]
	v_fmac_f64_e32 v[130:131], v[114:115], v[68:69]
	v_add_f64 v[108:109], v[32:33], v[120:121]
	v_add_f64 v[32:33], v[116:117], v[120:121]
	v_or_b32_e32 v0, v0, v21
	v_fmac_f64_e32 v[148:149], -0.5, v[32:33]
	v_add_f64 v[32:33], v[126:127], -v[130:131]
	v_lshlrev_b32_e32 v0, 4, v0
	v_fma_f64 v[112:113], s[2:3], v[32:33], v[148:149]
	v_fmac_f64_e32 v[148:149], s[6:7], v[32:33]
	v_add_f64 v[32:33], v[150:151], v[126:127]
	ds_write_b128 v0, v[100:103]
	ds_write_b128 v0, v[104:107] offset:256
	v_accvgpr_write_b32 a95, v0
	ds_write_b128 v0, v[76:79] offset:512
	v_lshrrev_b32_e32 v0, 4, v132
	v_add_f64 v[110:111], v[32:33], v[130:131]
	v_add_f64 v[32:33], v[126:127], v[130:131]
	v_mul_u32_u24_e32 v0, 48, v0
	v_fmac_f64_e32 v[150:151], -0.5, v[32:33]
	v_add_f64 v[32:33], v[116:117], -v[120:121]
	v_or_b32_e32 v0, v0, v21
	v_fma_f64 v[114:115], s[6:7], v[32:33], v[150:151]
	v_fmac_f64_e32 v[150:151], s[2:3], v[32:33]
	v_lshlrev_b32_e32 v0, 4, v0
	ds_write_b128 v0, v[108:111]
	ds_write_b128 v0, v[112:115] offset:256
	ds_write_b128 v0, v[148:151] offset:512
	s_waitcnt lgkmcnt(0)
	s_barrier
	ds_read_b128 v[156:159], v26
	ds_read_b128 v[152:155], v26 offset:1792
	ds_read_b128 v[140:143], v26 offset:3840
	;; [unrolled: 1-line block ×13, first 2 shown]
	v_accvgpr_write_b32 a96, v0
	v_cmp_gt_u16_e64 s[2:3], 16, v28
                                        ; implicit-def: $vgpr112_vgpr113
	s_and_saveexec_b64 s[6:7], s[2:3]
	s_cbranch_execz .LBB0_21
; %bb.20:
	ds_read_b128 v[148:151], v26 offset:3584
	ds_read_b128 v[92:95], v26 offset:7424
	;; [unrolled: 1-line block ×7, first 2 shown]
.LBB0_21:
	s_or_b64 exec, exec, s[6:7]
	s_movk_i32 s16, 0xab
	v_mul_lo_u16_sdwa v0, v28, s16 dst_sel:DWORD dst_unused:UNUSED_PAD src0_sel:BYTE_0 src1_sel:DWORD
	v_lshrrev_b16_e32 v21, 13, v0
	v_mul_lo_u16_e32 v0, 48, v21
	v_sub_u16_e32 v0, v28, v0
	v_and_b32_e32 v23, 0xff, v0
	s_movk_i32 s17, 0x60
	v_mov_b64_e32 v[8:9], s[0:1]
	v_mad_u64_u32 v[18:19], s[6:7], v23, s17, v[8:9]
	global_load_dwordx4 v[96:99], v[18:19], off offset:784
	global_load_dwordx4 v[100:103], v[18:19], off offset:768
	;; [unrolled: 1-line block ×4, first 2 shown]
	s_mov_b32 s20, 0xe976ee23
	s_mov_b32 s22, 0xaaaaaaaa
	s_mov_b32 s21, 0xbfe11646
	s_mov_b32 s18, 0x429ad128
	s_mov_b32 s23, 0xbff2aaaa
	s_mov_b32 s24, 0x5476071b
	s_mov_b32 s28, 0xb247c609
	s_mov_b32 s19, 0x3febfeb5
	s_mov_b32 s25, 0x3fe77f67
	s_mov_b32 s27, 0xbfe77f67
	s_mov_b32 s26, s24
	s_mov_b32 s29, 0x3fd5d0dc
	s_mov_b32 s30, 0x37c3f68c
	s_mov_b32 s35, 0xbfd5d0dc
	s_mov_b32 s34, s28
	s_mov_b32 s31, 0x3fdc38aa
	s_waitcnt vmcnt(3) lgkmcnt(5)
	v_mul_f64 v[14:15], v[118:119], v[98:99]
	s_waitcnt vmcnt(2)
	v_mul_f64 v[10:11], v[122:123], v[102:103]
	v_mul_f64 v[12:13], v[120:121], v[102:103]
	;; [unrolled: 1-line block ×3, first 2 shown]
	v_fma_f64 v[10:11], v[120:121], v[100:101], -v[10:11]
	v_fmac_f64_e32 v[12:13], v[122:123], v[100:101]
	v_fma_f64 v[14:15], v[116:117], v[96:97], -v[14:15]
	v_fmac_f64_e32 v[16:17], v[118:119], v[96:97]
	global_load_dwordx4 v[116:119], v[18:19], off offset:816
	global_load_dwordx4 v[120:123], v[18:19], off offset:800
	s_waitcnt vmcnt(2)
	v_mul_f64 v[0:1], v[142:143], v[110:111]
	v_mul_f64 v[2:3], v[140:141], v[110:111]
	;; [unrolled: 1-line block ×4, first 2 shown]
	v_fma_f64 v[0:1], v[140:141], v[108:109], -v[0:1]
	v_fmac_f64_e32 v[2:3], v[142:143], v[108:109]
	v_fma_f64 v[4:5], v[132:133], v[104:105], -v[4:5]
	v_fmac_f64_e32 v[6:7], v[134:135], v[104:105]
	v_add_f64 v[40:41], v[10:11], v[14:15]
	v_add_f64 v[10:11], v[14:15], -v[10:11]
	v_add_f64 v[42:43], v[12:13], v[16:17]
	v_add_f64 v[12:13], v[16:17], -v[12:13]
	s_waitcnt vmcnt(1) lgkmcnt(1)
	v_mul_f64 v[186:187], v[124:125], v[118:119]
	s_waitcnt vmcnt(0)
	v_mul_f64 v[18:19], v[130:131], v[122:123]
	v_fma_f64 v[176:177], v[128:129], v[120:121], -v[18:19]
	v_mul_f64 v[18:19], v[126:127], v[118:119]
	v_fma_f64 v[184:185], v[124:125], v[116:117], -v[18:19]
	v_mul_lo_u16_sdwa v18, v22, s16 dst_sel:DWORD dst_unused:UNUSED_PAD src0_sel:BYTE_0 src1_sel:DWORD
	v_lshrrev_b16_e32 v29, 13, v18
	v_mul_lo_u16_e32 v18, 48, v29
	v_sub_u16_e32 v18, v22, v18
	v_and_b32_e32 v220, 0xff, v18
	v_mul_f64 v[178:179], v[128:129], v[122:123]
	v_mad_u64_u32 v[8:9], s[6:7], v220, s17, v[8:9]
	v_fmac_f64_e32 v[178:179], v[130:131], v[120:121]
	v_fmac_f64_e32 v[186:187], v[126:127], v[116:117]
	global_load_dwordx4 v[124:127], v[8:9], off offset:784
	global_load_dwordx4 v[128:131], v[8:9], off offset:768
	;; [unrolled: 1-line block ×4, first 2 shown]
	s_mov_b32 s6, 0xaaab
	s_mov_b32 s16, 0x37e14327
	;; [unrolled: 1-line block ×3, first 2 shown]
	s_waitcnt vmcnt(3)
	v_mul_f64 v[196:197], v[84:85], v[126:127]
	s_waitcnt vmcnt(2)
	v_mul_f64 v[192:193], v[88:89], v[130:131]
	;; [unrolled: 2-line block ×4, first 2 shown]
	v_mul_f64 v[180:181], v[144:145], v[142:143]
	v_mul_f64 v[188:189], v[136:137], v[134:135]
	v_fma_f64 v[18:19], v[144:145], v[140:141], -v[18:19]
	v_fmac_f64_e32 v[180:181], v[146:147], v[140:141]
	v_fma_f64 v[182:183], v[136:137], v[132:133], -v[32:33]
	v_fmac_f64_e32 v[188:189], v[138:139], v[132:133]
	global_load_dwordx4 v[136:139], v[8:9], off offset:816
	global_load_dwordx4 v[144:147], v[8:9], off offset:800
	v_mul_f64 v[32:33], v[90:91], v[130:131]
	v_fma_f64 v[190:191], v[88:89], v[128:129], -v[32:33]
	v_mul_f64 v[32:33], v[86:87], v[126:127]
	v_fma_f64 v[194:195], v[84:85], v[124:125], -v[32:33]
	v_fmac_f64_e32 v[192:193], v[90:91], v[128:129]
	v_fmac_f64_e32 v[196:197], v[86:87], v[124:125]
	s_waitcnt vmcnt(1) lgkmcnt(0)
	v_mul_f64 v[214:215], v[76:77], v[138:139]
	s_waitcnt vmcnt(0)
	v_mul_f64 v[8:9], v[82:83], v[146:147]
	v_fma_f64 v[208:209], v[80:81], v[144:145], -v[8:9]
	v_mul_f64 v[8:9], v[78:79], v[138:139]
	v_fma_f64 v[212:213], v[76:77], v[136:137], -v[8:9]
	v_mul_u32_u24_sdwa v8, v20, s6 dst_sel:DWORD dst_unused:UNUSED_PAD src0_sel:WORD_0 src1_sel:DWORD
	v_lshrrev_b32_e32 v8, 21, v8
	v_mul_lo_u16_e32 v8, 48, v8
	v_sub_u16_e32 v221, v20, v8
	v_mul_lo_u16_e32 v8, 0x60, v221
	v_mov_b32_e32 v9, 0
	v_mul_f64 v[210:211], v[80:81], v[146:147]
	v_lshl_add_u64 v[32:33], s[0:1], 0, v[8:9]
	v_fmac_f64_e32 v[210:211], v[82:83], v[144:145]
	global_load_dwordx4 v[36:39], v[32:33], off offset:784
	global_load_dwordx4 v[80:83], v[32:33], off offset:768
	;; [unrolled: 1-line block ×4, first 2 shown]
	s_mov_b32 s6, 0x36b3c0b5
	s_mov_b32 s7, 0x3fac98ee
	v_fmac_f64_e32 v[214:215], v[78:79], v[136:137]
	v_mul_u32_u24_e32 v8, 0x150, v21
	v_add_lshl_u32 v31, v8, v23, 4
	s_waitcnt vmcnt(3)
	v_accvgpr_write_b32 a91, v39
	v_accvgpr_write_b32 a90, v38
	s_waitcnt vmcnt(1)
	v_mul_f64 v[204:205], v[112:113], v[86:87]
	s_waitcnt vmcnt(0)
	v_mul_f64 v[34:35], v[94:95], v[90:91]
	v_fma_f64 v[198:199], v[92:93], v[88:89], -v[34:35]
	v_mul_f64 v[200:201], v[92:93], v[90:91]
	v_mul_f64 v[34:35], v[114:115], v[86:87]
	v_fmac_f64_e32 v[200:201], v[94:95], v[88:89]
	v_fma_f64 v[202:203], v[112:113], v[84:85], -v[34:35]
	v_fmac_f64_e32 v[204:205], v[114:115], v[84:85]
	global_load_dwordx4 v[92:95], v[32:33], off offset:816
	global_load_dwordx4 v[112:115], v[32:33], off offset:800
	v_mul_f64 v[34:35], v[170:171], v[82:83]
	v_fma_f64 v[206:207], v[168:169], v[80:81], -v[34:35]
	v_mul_f64 v[168:169], v[168:169], v[82:83]
	v_mul_f64 v[34:35], v[174:175], v[38:39]
	v_fmac_f64_e32 v[168:169], v[170:171], v[80:81]
	v_fma_f64 v[170:171], v[172:173], v[36:37], -v[34:35]
	v_mul_f64 v[172:173], v[172:173], v[38:39]
	v_fmac_f64_e32 v[172:173], v[174:175], v[36:37]
	v_accvgpr_write_b32 a89, v37
	v_accvgpr_write_b32 a88, v36
	v_add_f64 v[36:37], v[4:5], v[176:177]
	v_add_f64 v[34:35], v[2:3], v[186:187]
	v_add_f64 v[38:39], v[6:7], v[178:179]
	v_add_f64 v[16:17], v[38:39], v[34:35]
	v_add_f64 v[4:5], v[4:5], -v[176:177]
	v_add_f64 v[16:17], v[42:43], v[16:17]
	v_add_f64 v[2:3], v[2:3], -v[186:187]
	v_add_f64 v[6:7], v[6:7], -v[178:179]
	;; [unrolled: 1-line block ×5, first 2 shown]
	v_add_f64 v[48:49], v[10:11], v[4:5]
	v_add_f64 v[52:53], v[10:11], -v[4:5]
	v_add_f64 v[158:159], v[158:159], v[16:17]
	v_add_f64 v[50:51], v[12:13], v[6:7]
	v_add_f64 v[54:55], v[12:13], -v[6:7]
	v_add_f64 v[6:7], v[6:7], -v[2:3]
	v_mul_f64 v[34:35], v[34:35], s[16:17]
	v_mul_f64 v[42:43], v[38:39], s[6:7]
	v_add_f64 v[12:13], v[2:3], -v[12:13]
	v_add_f64 v[2:3], v[50:51], v[2:3]
	v_mul_f64 v[50:51], v[54:55], s[20:21]
	v_mul_f64 v[54:55], v[6:7], s[18:19]
	v_fma_f64 v[6:7], v[6:7], s[18:19], -v[50:51]
	v_fmac_f64_e32 v[50:51], s[28:29], v[12:13]
	v_fmac_f64_e32 v[50:51], s[30:31], v[2:3]
	v_fmac_f64_e32 v[6:7], s[30:31], v[2:3]
	s_barrier
	s_waitcnt vmcnt(0)
	v_mul_f64 v[32:33], v[162:163], v[114:115]
	v_fma_f64 v[174:175], v[160:161], v[112:113], -v[32:33]
	v_mul_f64 v[32:33], v[166:167], v[94:95]
	v_fma_f64 v[218:219], v[164:165], v[92:93], -v[32:33]
	v_add_f64 v[32:33], v[0:1], v[184:185]
	v_add_f64 v[14:15], v[36:37], v[32:33]
	;; [unrolled: 1-line block ×4, first 2 shown]
	v_mul_f64 v[216:217], v[160:161], v[114:115]
	v_add_f64 v[0:1], v[0:1], -v[184:185]
	v_add_f64 v[44:45], v[36:37], -v[32:33]
	;; [unrolled: 1-line block ×4, first 2 shown]
	v_mov_b64_e32 v[160:161], v[156:157]
	v_add_f64 v[10:11], v[0:1], -v[10:11]
	v_add_f64 v[4:5], v[4:5], -v[0:1]
	v_add_f64 v[0:1], v[48:49], v[0:1]
	v_mul_f64 v[32:33], v[32:33], s[16:17]
	v_mul_f64 v[40:41], v[36:37], s[6:7]
	;; [unrolled: 1-line block ×3, first 2 shown]
	v_fmac_f64_e32 v[160:161], s[22:23], v[14:15]
	v_mov_b64_e32 v[14:15], v[158:159]
	v_mul_f64 v[52:53], v[4:5], s[18:19]
	v_fmac_f64_e32 v[14:15], s[22:23], v[16:17]
	v_fma_f64 v[16:17], v[44:45], s[24:25], -v[40:41]
	v_fma_f64 v[40:41], v[46:47], s[24:25], -v[42:43]
	;; [unrolled: 1-line block ×3, first 2 shown]
	v_fmac_f64_e32 v[32:33], s[6:7], v[36:37]
	v_fma_f64 v[36:37], v[46:47], s[26:27], -v[34:35]
	v_fmac_f64_e32 v[34:35], s[6:7], v[38:39]
	v_fma_f64 v[4:5], v[4:5], s[18:19], -v[48:49]
	v_fmac_f64_e32 v[48:49], s[28:29], v[10:11]
	v_fma_f64 v[38:39], v[10:11], s[34:35], -v[52:53]
	v_fma_f64 v[10:11], v[12:13], s[34:35], -v[54:55]
	v_add_f64 v[34:35], v[34:35], v[14:15]
	v_add_f64 v[12:13], v[16:17], v[160:161]
	;; [unrolled: 1-line block ×3, first 2 shown]
	v_fmac_f64_e32 v[48:49], s[30:31], v[0:1]
	v_fmac_f64_e32 v[4:5], s[30:31], v[0:1]
	;; [unrolled: 1-line block ×3, first 2 shown]
	v_add_f64 v[32:33], v[32:33], v[160:161]
	v_add_f64 v[14:15], v[36:37], v[14:15]
	v_fmac_f64_e32 v[38:39], s[30:31], v[0:1]
	v_fmac_f64_e32 v[10:11], s[30:31], v[2:3]
	v_add_f64 v[162:163], v[34:35], -v[48:49]
	v_add_f64 v[186:187], v[4:5], v[16:17]
	v_add_f64 v[2:3], v[16:17], -v[4:5]
	v_add_f64 v[16:17], v[48:49], v[34:35]
	v_add_f64 v[4:5], v[18:19], v[212:213]
	;; [unrolled: 1-line block ×5, first 2 shown]
	v_add_f64 v[178:179], v[14:15], -v[38:39]
	v_add_f64 v[184:185], v[12:13], -v[6:7]
	v_add_f64 v[0:1], v[6:7], v[12:13]
	v_add_f64 v[12:13], v[38:39], v[14:15]
	v_add_f64 v[14:15], v[32:33], -v[50:51]
	v_add_f64 v[6:7], v[180:181], v[214:215]
	v_add_f64 v[36:37], v[188:189], v[210:211]
	;; [unrolled: 1-line block ×4, first 2 shown]
	v_mul_f64 v[164:165], v[164:165], v[94:95]
	v_add_f64 v[44:45], v[192:193], v[196:197]
	v_add_f64 v[52:53], v[36:37], v[6:7]
	v_add_f64 v[54:55], v[34:35], -v[4:5]
	v_add_f64 v[4:5], v[4:5], -v[42:43]
	;; [unrolled: 1-line block ×3, first 2 shown]
	v_add_f64 v[42:43], v[42:43], v[50:51]
	v_fmac_f64_e32 v[164:165], v[166:167], v[92:93]
	v_add_f64 v[176:177], v[10:11], v[40:41]
	v_add_f64 v[10:11], v[40:41], -v[10:11]
	v_add_f64 v[18:19], v[18:19], -v[212:213]
	v_add_f64 v[38:39], v[182:183], -v[208:209]
	v_add_f64 v[40:41], v[188:189], -v[210:211]
	v_add_f64 v[46:47], v[194:195], -v[190:191]
	v_add_f64 v[48:49], v[196:197], -v[192:193]
	v_add_f64 v[166:167], v[36:37], -v[6:7]
	v_add_f64 v[6:7], v[6:7], -v[44:45]
	v_add_f64 v[36:37], v[44:45], -v[36:37]
	v_add_f64 v[44:45], v[44:45], v[52:53]
	v_add_f64 v[152:153], v[152:153], v[42:43]
	v_add_f64 v[32:33], v[180:181], -v[214:215]
	v_add_f64 v[180:181], v[46:47], v[38:39]
	v_add_f64 v[182:183], v[48:49], v[40:41]
	v_add_f64 v[188:189], v[46:47], -v[38:39]
	v_add_f64 v[190:191], v[48:49], -v[40:41]
	;; [unrolled: 1-line block ×3, first 2 shown]
	v_add_f64 v[154:155], v[154:155], v[44:45]
	v_mov_b64_e32 v[192:193], v[152:153]
	v_add_f64 v[46:47], v[18:19], -v[46:47]
	v_add_f64 v[48:49], v[32:33], -v[48:49]
	;; [unrolled: 1-line block ×3, first 2 shown]
	v_add_f64 v[18:19], v[180:181], v[18:19]
	v_add_f64 v[32:33], v[182:183], v[32:33]
	v_mul_f64 v[4:5], v[4:5], s[16:17]
	v_mul_f64 v[6:7], v[6:7], s[16:17]
	;; [unrolled: 1-line block ×7, first 2 shown]
	v_fmac_f64_e32 v[192:193], s[22:23], v[42:43]
	v_mov_b64_e32 v[42:43], v[154:155]
	v_mul_f64 v[190:191], v[40:41], s[18:19]
	v_fmac_f64_e32 v[42:43], s[22:23], v[44:45]
	v_fma_f64 v[44:45], v[54:55], s[24:25], -v[50:51]
	v_fma_f64 v[50:51], v[166:167], s[24:25], -v[52:53]
	;; [unrolled: 1-line block ×3, first 2 shown]
	v_fmac_f64_e32 v[4:5], s[6:7], v[34:35]
	v_fma_f64 v[34:35], v[166:167], s[26:27], -v[6:7]
	v_fmac_f64_e32 v[6:7], s[6:7], v[36:37]
	v_fma_f64 v[36:37], v[38:39], s[18:19], -v[180:181]
	;; [unrolled: 2-line block ×4, first 2 shown]
	v_fma_f64 v[46:47], v[48:49], s[34:35], -v[190:191]
	v_add_f64 v[4:5], v[4:5], v[192:193]
	v_add_f64 v[6:7], v[6:7], v[42:43]
	;; [unrolled: 1-line block ×4, first 2 shown]
	v_fmac_f64_e32 v[180:181], s[30:31], v[18:19]
	v_fmac_f64_e32 v[182:183], s[30:31], v[32:33]
	;; [unrolled: 1-line block ×4, first 2 shown]
	v_add_f64 v[44:45], v[44:45], v[192:193]
	v_add_f64 v[50:51], v[52:53], v[192:193]
	v_fmac_f64_e32 v[38:39], s[30:31], v[32:33]
	v_fmac_f64_e32 v[46:47], s[30:31], v[32:33]
	v_add_f64 v[188:189], v[182:183], v[4:5]
	v_add_f64 v[190:191], v[6:7], -v[180:181]
	v_add_f64 v[194:195], v[34:35], -v[40:41]
	v_add_f64 v[210:211], v[36:37], v[48:49]
	v_add_f64 v[214:215], v[48:49], -v[36:37]
	v_add_f64 v[224:225], v[40:41], v[34:35]
	;; [unrolled: 2-line block ×3, first 2 shown]
	v_add_f64 v[4:5], v[198:199], v[218:219]
	v_add_f64 v[6:7], v[200:201], v[164:165]
	;; [unrolled: 1-line block ×5, first 2 shown]
	v_add_f64 v[208:209], v[44:45], -v[38:39]
	v_add_f64 v[212:213], v[38:39], v[44:45]
	v_add_f64 v[222:223], v[50:51], -v[46:47]
	v_add_f64 v[18:19], v[198:199], -v[218:219]
	;; [unrolled: 1-line block ×5, first 2 shown]
	v_add_f64 v[42:43], v[206:207], v[170:171]
	v_add_f64 v[44:45], v[168:169], v[172:173]
	v_add_f64 v[46:47], v[170:171], -v[206:207]
	v_add_f64 v[48:49], v[172:173], -v[168:169]
	v_add_f64 v[50:51], v[34:35], v[4:5]
	v_add_f64 v[52:53], v[36:37], v[6:7]
	v_add_f64 v[54:55], v[34:35], -v[4:5]
	v_add_f64 v[164:165], v[36:37], -v[6:7]
	v_add_f64 v[166:167], v[4:5], -v[42:43]
	v_add_f64 v[168:169], v[6:7], -v[44:45]
	v_add_f64 v[34:35], v[42:43], -v[34:35]
	v_add_f64 v[36:37], v[44:45], -v[36:37]
	v_add_f64 v[4:5], v[46:47], v[38:39]
	v_add_f64 v[6:7], v[48:49], v[40:41]
	v_add_f64 v[170:171], v[46:47], -v[38:39]
	v_add_f64 v[172:173], v[48:49], -v[40:41]
	;; [unrolled: 1-line block ×4, first 2 shown]
	v_add_f64 v[42:43], v[42:43], v[50:51]
	v_add_f64 v[44:45], v[44:45], v[52:53]
	v_add_f64 v[46:47], v[18:19], -v[46:47]
	v_add_f64 v[48:49], v[32:33], -v[48:49]
	v_add_f64 v[18:19], v[4:5], v[18:19]
	v_add_f64 v[32:33], v[6:7], v[32:33]
	;; [unrolled: 1-line block ×4, first 2 shown]
	v_mul_f64 v[50:51], v[166:167], s[16:17]
	v_mul_f64 v[52:53], v[168:169], s[16:17]
	;; [unrolled: 1-line block ×8, first 2 shown]
	v_fma_f64 v[42:43], s[22:23], v[42:43], v[4:5]
	v_fma_f64 v[44:45], s[22:23], v[44:45], v[6:7]
	;; [unrolled: 1-line block ×3, first 2 shown]
	v_fma_f64 v[148:149], v[54:55], s[24:25], -v[148:149]
	v_fma_f64 v[150:151], v[164:165], s[24:25], -v[150:151]
	;; [unrolled: 1-line block ×4, first 2 shown]
	v_fmac_f64_e32 v[52:53], s[6:7], v[36:37]
	v_fma_f64 v[36:37], s[28:29], v[46:47], v[166:167]
	v_fma_f64 v[38:39], v[38:39], s[18:19], -v[166:167]
	v_fma_f64 v[40:41], v[40:41], s[18:19], -v[196:197]
	v_fmac_f64_e32 v[196:197], s[28:29], v[48:49]
	v_fma_f64 v[46:47], v[46:47], s[34:35], -v[168:169]
	v_fma_f64 v[48:49], v[48:49], s[34:35], -v[170:171]
	ds_write_b128 v31, v[156:159]
	ds_write_b128 v31, v[160:163] offset:768
	ds_write_b128 v31, v[176:179] offset:1536
	;; [unrolled: 1-line block ×6, first 2 shown]
	v_mul_u32_u24_e32 v0, 0x150, v29
	v_add_f64 v[34:35], v[34:35], v[42:43]
	v_add_f64 v[52:53], v[52:53], v[44:45]
	;; [unrolled: 1-line block ×6, first 2 shown]
	v_fmac_f64_e32 v[36:37], s[30:31], v[18:19]
	v_fmac_f64_e32 v[196:197], s[30:31], v[32:33]
	;; [unrolled: 1-line block ×6, first 2 shown]
	v_add_lshl_u32 v29, v0, v220, 4
	v_lshlrev_b32_e32 v0, 4, v221
	v_add_f64 v[216:217], v[196:197], v[34:35]
	v_add_f64 v[218:219], v[52:53], -v[36:37]
	v_add_f64 v[164:165], v[48:49], v[42:43]
	v_add_f64 v[166:167], v[44:45], -v[46:47]
	v_add_f64 v[168:169], v[148:149], -v[40:41]
	v_add_f64 v[170:171], v[38:39], v[150:151]
	v_add_f64 v[172:173], v[40:41], v[148:149]
	v_add_f64 v[174:175], v[150:151], -v[38:39]
	v_add_f64 v[180:181], v[42:43], -v[48:49]
	v_add_f64 v[182:183], v[46:47], v[44:45]
	v_add_f64 v[196:197], v[34:35], -v[196:197]
	v_add_f64 v[198:199], v[36:37], v[52:53]
	v_accvgpr_write_b32 a97, v0
	ds_write_b128 v29, v[152:155]
	ds_write_b128 v29, v[188:191] offset:768
	ds_write_b128 v29, v[192:195] offset:1536
	;; [unrolled: 1-line block ×6, first 2 shown]
	s_and_saveexec_b64 s[6:7], s[2:3]
	s_cbranch_execz .LBB0_23
; %bb.22:
	v_accvgpr_read_b32 v0, a97
	ds_write_b128 v0, v[4:7] offset:21504
	ds_write_b128 v0, v[216:219] offset:22272
	;; [unrolled: 1-line block ×7, first 2 shown]
.LBB0_23:
	s_or_b64 exec, exec, s[6:7]
	v_lshlrev_b32_e32 v8, 4, v28
	v_lshl_add_u64 v[0:1], s[14:15], 0, v[8:9]
	v_lshlrev_b32_e32 v8, 6, v28
	v_lshl_add_u64 v[2:3], s[0:1], 0, v[8:9]
	s_movk_i32 s14, 0x1000
	s_mov_b64 s[6:7], 0x14e0
	v_add_co_u32_e32 v4, vcc, s14, v2
	v_lshlrev_b32_e32 v8, 6, v22
	s_nop 0
	v_addc_co_u32_e32 v5, vcc, 0, v3, vcc
	v_lshl_add_u64 v[2:3], v[2:3], 0, s[6:7]
	s_waitcnt lgkmcnt(0)
	s_barrier
	global_load_dwordx4 v[148:151], v[4:5], off offset:1248
	global_load_dwordx4 v[160:163], v[2:3], off offset:16
	;; [unrolled: 1-line block ×4, first 2 shown]
	v_lshl_add_u64 v[2:3], s[0:1], 0, v[8:9]
	v_add_co_u32_e32 v4, vcc, s14, v2
	v_lshlrev_b32_e32 v8, 6, v20
	s_nop 0
	v_addc_co_u32_e32 v5, vcc, 0, v3, vcc
	v_lshl_add_u64 v[2:3], v[2:3], 0, s[6:7]
	global_load_dwordx4 v[176:179], v[4:5], off offset:1248
	global_load_dwordx4 v[192:195], v[2:3], off offset:16
	;; [unrolled: 1-line block ×4, first 2 shown]
	v_lshl_add_u64 v[2:3], s[0:1], 0, v[8:9]
	v_add_co_u32_e32 v4, vcc, s14, v2
	s_mov_b32 s0, 0x4755a5e
	s_nop 0
	v_addc_co_u32_e32 v5, vcc, 0, v3, vcc
	v_lshl_add_u64 v[2:3], v[2:3], 0, s[6:7]
	global_load_dwordx4 v[200:203], v[4:5], off offset:1248
	global_load_dwordx4 v[212:215], v[2:3], off offset:16
	;; [unrolled: 1-line block ×4, first 2 shown]
	ds_read_b128 v[232:235], v26
	ds_read_b128 v[228:231], v26 offset:1792
	ds_read_b128 v[2:5], v26 offset:10752
	ds_read_b128 v[6:9], v26 offset:12544
	ds_read_b128 v[10:13], v26 offset:21504
	ds_read_b128 v[14:17], v26 offset:23296
	ds_read_b128 v[18:21], v26 offset:5376
	ds_read_b128 v[224:227], v26 offset:3584
	ds_read_b128 v[236:239], v26 offset:7168
	ds_read_b128 v[240:243], v26 offset:8960
	ds_read_b128 v[220:223], v26 offset:16128
	ds_read_b128 v[244:247], v26 offset:14336
	ds_read_b128 v[248:251], v26 offset:17920
	ds_read_b128 v[252:255], v26 offset:19712
	ds_read_b128 v[32:35], v26 offset:25088
	s_mov_b32 s6, 0x134454ff
	s_mov_b32 s7, 0x3fee6f0e
	;; [unrolled: 1-line block ×9, first 2 shown]
	s_waitcnt vmcnt(10) lgkmcnt(12)
	v_mul_f64 v[40:41], v[2:3], v[162:163]
	s_waitcnt lgkmcnt(8)
	v_mul_f64 v[36:37], v[18:19], v[150:151]
	v_mul_f64 v[22:23], v[20:21], v[150:151]
	s_waitcnt vmcnt(9) lgkmcnt(4)
	v_mul_f64 v[42:43], v[222:223], v[158:159]
	v_fmac_f64_e32 v[36:37], v[20:21], v[148:149]
	v_mul_f64 v[38:39], v[4:5], v[162:163]
	v_mul_f64 v[44:45], v[220:221], v[158:159]
	s_waitcnt vmcnt(8)
	v_mul_f64 v[48:49], v[10:11], v[154:155]
	v_fma_f64 v[50:51], v[18:19], v[148:149], -v[22:23]
	s_waitcnt vmcnt(6)
	v_mul_f64 v[20:21], v[6:7], v[194:195]
	v_fmac_f64_e32 v[40:41], v[4:5], v[160:161]
	v_fma_f64 v[42:43], v[220:221], v[156:157], -v[42:43]
	v_mul_f64 v[4:5], v[8:9], v[194:195]
	s_waitcnt vmcnt(4)
	v_mul_f64 v[220:221], v[14:15], v[186:187]
	v_fmac_f64_e32 v[20:21], v[8:9], v[192:193]
	v_mul_f64 v[46:47], v[12:13], v[154:155]
	v_fma_f64 v[38:39], v[2:3], v[160:161], -v[38:39]
	v_fmac_f64_e32 v[48:49], v[12:13], v[152:153]
	v_mul_f64 v[12:13], v[16:17], v[186:187]
	v_fmac_f64_e32 v[220:221], v[16:17], v[184:185]
	s_waitcnt vmcnt(0) lgkmcnt(0)
	v_mul_f64 v[8:9], v[34:35], v[206:207]
	v_fma_f64 v[16:17], v[32:33], v[204:205], -v[8:9]
	v_mul_f64 v[8:9], v[32:33], v[206:207]
	v_add_f64 v[32:33], v[232:233], v[50:51]
	v_mul_f64 v[2:3], v[238:239], v[178:179]
	v_add_f64 v[32:33], v[32:33], v[38:39]
	v_fma_f64 v[46:47], v[10:11], v[152:153], -v[46:47]
	v_mul_f64 v[10:11], v[250:251], v[190:191]
	v_fma_f64 v[52:53], v[236:237], v[176:177], -v[2:3]
	v_mul_f64 v[2:3], v[242:243], v[202:203]
	v_add_f64 v[32:33], v[32:33], v[42:43]
	v_fmac_f64_e32 v[44:45], v[222:223], v[156:157]
	v_fma_f64 v[222:223], v[248:249], v[188:189], -v[10:11]
	v_fma_f64 v[10:11], v[240:241], v[200:201], -v[2:3]
	v_mul_f64 v[2:3], v[240:241], v[202:203]
	v_add_f64 v[240:241], v[32:33], v[46:47]
	v_add_f64 v[32:33], v[38:39], v[42:43]
	v_mul_f64 v[18:19], v[236:237], v[178:179]
	v_fma_f64 v[54:55], v[6:7], v[192:193], -v[4:5]
	v_mul_f64 v[4:5], v[246:247], v[214:215]
	v_fma_f64 v[236:237], -0.5, v[32:33], v[232:233]
	v_add_f64 v[32:33], v[36:37], -v[48:49]
	v_fmac_f64_e32 v[18:19], v[238:239], v[176:177]
	v_fma_f64 v[76:77], v[14:15], v[184:185], -v[12:13]
	v_fma_f64 v[12:13], v[244:245], v[212:213], -v[4:5]
	v_mul_f64 v[4:5], v[244:245], v[214:215]
	v_fmac_f64_e32 v[8:9], v[34:35], v[204:205]
	v_fma_f64 v[244:245], s[6:7], v[32:33], v[236:237]
	v_add_f64 v[34:35], v[40:41], -v[44:45]
	v_add_f64 v[78:79], v[50:51], -v[38:39]
	;; [unrolled: 1-line block ×3, first 2 shown]
	v_fmac_f64_e32 v[236:237], s[16:17], v[32:33]
	v_fmac_f64_e32 v[244:245], s[0:1], v[34:35]
	v_add_f64 v[78:79], v[78:79], v[238:239]
	v_fmac_f64_e32 v[236:237], s[18:19], v[34:35]
	v_fmac_f64_e32 v[244:245], s[14:15], v[78:79]
	v_fmac_f64_e32 v[236:237], s[14:15], v[78:79]
	v_add_f64 v[78:79], v[50:51], v[46:47]
	v_fmac_f64_e32 v[232:233], -0.5, v[78:79]
	v_mul_f64 v[22:23], v[248:249], v[190:191]
	v_fma_f64 v[248:249], s[16:17], v[34:35], v[232:233]
	v_fmac_f64_e32 v[232:233], s[6:7], v[34:35]
	v_fmac_f64_e32 v[248:249], s[0:1], v[32:33]
	v_fmac_f64_e32 v[232:233], s[18:19], v[32:33]
	v_add_f64 v[32:33], v[234:235], v[36:37]
	v_add_f64 v[32:33], v[32:33], v[40:41]
	;; [unrolled: 1-line block ×3, first 2 shown]
	v_fmac_f64_e32 v[2:3], v[242:243], v[200:201]
	v_add_f64 v[78:79], v[38:39], -v[50:51]
	v_add_f64 v[238:239], v[42:43], -v[46:47]
	v_add_f64 v[242:243], v[32:33], v[48:49]
	v_add_f64 v[32:33], v[40:41], v[44:45]
	v_add_f64 v[78:79], v[78:79], v[238:239]
	v_fma_f64 v[238:239], -0.5, v[32:33], v[234:235]
	v_add_f64 v[32:33], v[50:51], -v[46:47]
	v_fmac_f64_e32 v[4:5], v[246:247], v[212:213]
	v_fma_f64 v[246:247], s[16:17], v[32:33], v[238:239]
	v_add_f64 v[34:35], v[38:39], -v[42:43]
	v_add_f64 v[38:39], v[36:37], -v[40:41]
	;; [unrolled: 1-line block ×3, first 2 shown]
	v_fmac_f64_e32 v[238:239], s[6:7], v[32:33]
	v_fmac_f64_e32 v[246:247], s[18:19], v[34:35]
	v_add_f64 v[38:39], v[38:39], v[42:43]
	v_fmac_f64_e32 v[238:239], s[0:1], v[34:35]
	v_fmac_f64_e32 v[246:247], s[14:15], v[38:39]
	;; [unrolled: 1-line block ×3, first 2 shown]
	v_add_f64 v[38:39], v[36:37], v[48:49]
	v_fmac_f64_e32 v[234:235], -0.5, v[38:39]
	v_fmac_f64_e32 v[22:23], v[250:251], v[188:189]
	v_mul_f64 v[6:7], v[254:255], v[210:211]
	v_fma_f64 v[250:251], s[6:7], v[34:35], v[234:235]
	v_add_f64 v[36:37], v[40:41], -v[36:37]
	v_add_f64 v[38:39], v[44:45], -v[48:49]
	v_fmac_f64_e32 v[234:235], s[16:17], v[34:35]
	v_add_f64 v[34:35], v[54:55], v[222:223]
	v_fma_f64 v[14:15], v[252:253], v[208:209], -v[6:7]
	v_mul_f64 v[6:7], v[252:253], v[210:211]
	v_fmac_f64_e32 v[250:251], s[18:19], v[32:33]
	v_add_f64 v[36:37], v[36:37], v[38:39]
	v_fmac_f64_e32 v[234:235], s[0:1], v[32:33]
	v_fma_f64 v[252:253], -0.5, v[34:35], v[228:229]
	v_add_f64 v[34:35], v[18:19], -v[220:221]
	v_fmac_f64_e32 v[250:251], s[14:15], v[36:37]
	v_fmac_f64_e32 v[234:235], s[14:15], v[36:37]
	v_fma_f64 v[36:37], s[6:7], v[34:35], v[252:253]
	v_add_f64 v[38:39], v[20:21], -v[22:23]
	v_add_f64 v[40:41], v[52:53], -v[54:55]
	;; [unrolled: 1-line block ×3, first 2 shown]
	v_fmac_f64_e32 v[252:253], s[16:17], v[34:35]
	v_fmac_f64_e32 v[36:37], s[0:1], v[38:39]
	v_add_f64 v[40:41], v[40:41], v[42:43]
	v_fmac_f64_e32 v[252:253], s[18:19], v[38:39]
	v_fmac_f64_e32 v[36:37], s[14:15], v[40:41]
	;; [unrolled: 1-line block ×3, first 2 shown]
	v_add_f64 v[40:41], v[52:53], v[76:77]
	v_add_f64 v[32:33], v[228:229], v[52:53]
	v_fmac_f64_e32 v[228:229], -0.5, v[40:41]
	v_fma_f64 v[40:41], s[16:17], v[38:39], v[228:229]
	v_add_f64 v[42:43], v[54:55], -v[52:53]
	v_add_f64 v[44:45], v[222:223], -v[76:77]
	v_fmac_f64_e32 v[228:229], s[6:7], v[38:39]
	v_add_f64 v[38:39], v[20:21], v[22:23]
	v_fmac_f64_e32 v[6:7], v[254:255], v[208:209]
	v_fmac_f64_e32 v[40:41], s[0:1], v[34:35]
	v_add_f64 v[42:43], v[42:43], v[44:45]
	v_fmac_f64_e32 v[228:229], s[18:19], v[34:35]
	v_fma_f64 v[254:255], -0.5, v[38:39], v[230:231]
	v_add_f64 v[44:45], v[52:53], -v[76:77]
	v_fmac_f64_e32 v[40:41], s[14:15], v[42:43]
	v_fmac_f64_e32 v[228:229], s[14:15], v[42:43]
	v_fma_f64 v[38:39], s[16:17], v[44:45], v[254:255]
	v_add_f64 v[46:47], v[54:55], -v[222:223]
	v_add_f64 v[42:43], v[18:19], -v[20:21]
	;; [unrolled: 1-line block ×3, first 2 shown]
	v_fmac_f64_e32 v[254:255], s[6:7], v[44:45]
	v_add_f64 v[34:35], v[230:231], v[18:19]
	v_fmac_f64_e32 v[38:39], s[18:19], v[46:47]
	v_add_f64 v[42:43], v[42:43], v[48:49]
	;; [unrolled: 2-line block ×3, first 2 shown]
	v_fmac_f64_e32 v[38:39], s[14:15], v[42:43]
	v_fmac_f64_e32 v[254:255], s[14:15], v[42:43]
	v_add_f64 v[42:43], v[18:19], v[220:221]
	v_add_f64 v[18:19], v[20:21], -v[18:19]
	v_add_f64 v[20:21], v[22:23], -v[220:221]
	v_add_f64 v[34:35], v[34:35], v[22:23]
	v_fmac_f64_e32 v[230:231], -0.5, v[42:43]
	v_add_f64 v[18:19], v[18:19], v[20:21]
	v_add_f64 v[20:21], v[12:13], v[14:15]
	;; [unrolled: 1-line block ×3, first 2 shown]
	v_fma_f64 v[42:43], s[6:7], v[46:47], v[230:231]
	v_fmac_f64_e32 v[230:231], s[16:17], v[46:47]
	v_fma_f64 v[220:221], -0.5, v[20:21], v[224:225]
	v_add_f64 v[20:21], v[2:3], -v[8:9]
	v_fmac_f64_e32 v[42:43], s[18:19], v[44:45]
	v_fmac_f64_e32 v[230:231], s[0:1], v[44:45]
	v_fma_f64 v[44:45], s[6:7], v[20:21], v[220:221]
	v_add_f64 v[22:23], v[4:5], -v[6:7]
	v_add_f64 v[46:47], v[10:11], -v[12:13]
	;; [unrolled: 1-line block ×3, first 2 shown]
	v_fmac_f64_e32 v[220:221], s[16:17], v[20:21]
	v_fmac_f64_e32 v[44:45], s[0:1], v[22:23]
	v_add_f64 v[46:47], v[46:47], v[48:49]
	v_fmac_f64_e32 v[220:221], s[18:19], v[22:23]
	v_fmac_f64_e32 v[44:45], s[14:15], v[46:47]
	;; [unrolled: 1-line block ×3, first 2 shown]
	v_add_f64 v[46:47], v[10:11], v[16:17]
	v_fmac_f64_e32 v[42:43], s[14:15], v[18:19]
	v_fmac_f64_e32 v[230:231], s[14:15], v[18:19]
	v_add_f64 v[18:19], v[224:225], v[10:11]
	v_fmac_f64_e32 v[224:225], -0.5, v[46:47]
	v_add_f64 v[32:33], v[32:33], v[54:55]
	v_add_f64 v[18:19], v[18:19], v[12:13]
	v_fma_f64 v[48:49], s[16:17], v[22:23], v[224:225]
	v_add_f64 v[46:47], v[12:13], -v[10:11]
	v_add_f64 v[50:51], v[14:15], -v[16:17]
	v_fmac_f64_e32 v[224:225], s[6:7], v[22:23]
	v_add_f64 v[22:23], v[4:5], v[6:7]
	v_add_f64 v[32:33], v[32:33], v[222:223]
	;; [unrolled: 1-line block ×3, first 2 shown]
	v_fmac_f64_e32 v[48:49], s[0:1], v[20:21]
	v_add_f64 v[46:47], v[46:47], v[50:51]
	v_fmac_f64_e32 v[224:225], s[18:19], v[20:21]
	v_fma_f64 v[222:223], -0.5, v[22:23], v[226:227]
	v_add_f64 v[10:11], v[10:11], -v[16:17]
	v_add_f64 v[18:19], v[18:19], v[16:17]
	v_fmac_f64_e32 v[48:49], s[14:15], v[46:47]
	v_fmac_f64_e32 v[224:225], s[14:15], v[46:47]
	v_fma_f64 v[46:47], s[16:17], v[10:11], v[222:223]
	v_add_f64 v[12:13], v[12:13], -v[14:15]
	v_add_f64 v[14:15], v[2:3], -v[4:5]
	;; [unrolled: 1-line block ×3, first 2 shown]
	v_fmac_f64_e32 v[222:223], s[6:7], v[10:11]
	v_fmac_f64_e32 v[46:47], s[18:19], v[12:13]
	v_add_f64 v[14:15], v[14:15], v[16:17]
	v_fmac_f64_e32 v[222:223], s[0:1], v[12:13]
	v_fmac_f64_e32 v[46:47], s[14:15], v[14:15]
	;; [unrolled: 1-line block ×3, first 2 shown]
	v_add_f64 v[14:15], v[2:3], v[8:9]
	v_add_f64 v[20:21], v[226:227], v[2:3]
	v_fmac_f64_e32 v[226:227], -0.5, v[14:15]
	v_add_f64 v[20:21], v[20:21], v[4:5]
	v_fma_f64 v[50:51], s[6:7], v[12:13], v[226:227]
	v_add_f64 v[2:3], v[4:5], -v[2:3]
	v_add_f64 v[4:5], v[6:7], -v[8:9]
	v_fmac_f64_e32 v[226:227], s[16:17], v[12:13]
	v_fmac_f64_e32 v[50:51], s[18:19], v[10:11]
	v_add_f64 v[2:3], v[2:3], v[4:5]
	v_fmac_f64_e32 v[226:227], s[0:1], v[10:11]
	s_movk_i32 s6, 0x6000
	v_fmac_f64_e32 v[50:51], s[14:15], v[2:3]
	v_fmac_f64_e32 v[226:227], s[14:15], v[2:3]
	v_add_co_u32_e32 v2, vcc, s6, v0
	s_mov_b32 s0, 0x9000
	s_nop 0
	v_addc_co_u32_e32 v3, vcc, 0, v1, vcc
	v_add_f64 v[20:21], v[20:21], v[6:7]
	v_add_co_u32_e32 v4, vcc, s0, v0
	v_fmac_f64_e32 v[248:249], s[14:15], v[78:79]
	v_fmac_f64_e32 v[232:233], s[14:15], v[78:79]
	v_add_f64 v[32:33], v[32:33], v[76:77]
	v_add_f64 v[20:21], v[20:21], v[8:9]
	ds_write_b128 v26, v[240:243]
	ds_write_b128 v26, v[244:247] offset:5376
	ds_write_b128 v26, v[248:251] offset:10752
	;; [unrolled: 1-line block ×14, first 2 shown]
	s_waitcnt lgkmcnt(0)
	s_barrier
	global_load_dwordx4 v[224:227], v[2:3], off offset:2304
	v_addc_co_u32_e32 v5, vcc, 0, v1, vcc
	global_load_dwordx4 v[228:231], v[4:5], off offset:3456
	s_mov_b64 s[0:1], 0x6900
	v_lshl_add_u64 v[2:3], v[0:1], 0, s[0:1]
	global_load_dwordx4 v[232:235], v[2:3], off offset:1792
	s_mov_b32 s0, 0xa000
	v_add_co_u32_e32 v6, vcc, s0, v0
	s_movk_i32 s0, 0x7000
	s_nop 0
	v_addc_co_u32_e32 v7, vcc, 0, v1, vcc
	global_load_dwordx4 v[236:239], v[6:7], off offset:1152
	global_load_dwordx4 v[240:243], v[2:3], off offset:3584
	;; [unrolled: 1-line block ×3, first 2 shown]
	v_add_co_u32_e32 v6, vcc, s0, v0
	s_mov_b32 s0, 0xb000
	s_nop 0
	v_addc_co_u32_e32 v7, vcc, 0, v1, vcc
	global_load_dwordx4 v[248:251], v[6:7], off offset:3584
	v_add_co_u32_e32 v14, vcc, s0, v0
	s_mov_b32 s0, 0x8000
	s_nop 0
	v_addc_co_u32_e32 v15, vcc, 0, v1, vcc
	global_load_dwordx4 v[6:9], v[14:15], off offset:640
	;; [unrolled: 5-line block ×3, first 2 shown]
	s_nop 0
	global_load_dwordx4 v[14:17], v[14:15], off offset:2432
	s_nop 0
	global_load_dwordx4 v[18:21], v[18:19], off offset:3072
	v_add_co_u32_e32 v0, vcc, s0, v0
	s_nop 1
	v_addc_co_u32_e32 v1, vcc, 0, v1, vcc
	global_load_dwordx4 v[32:35], v[0:1], off offset:128
	global_load_dwordx4 v[36:39], v[4:5], off offset:768
	;; [unrolled: 1-line block ×3, first 2 shown]
	ds_read_b128 v[40:43], v26
	ds_read_b128 v[48:51], v26 offset:1792
	ds_read_b128 v[52:55], v26 offset:13440
	s_waitcnt vmcnt(13) lgkmcnt(2)
	v_mul_f64 v[0:1], v[42:43], v[226:227]
	v_mul_f64 v[254:255], v[40:41], v[226:227]
	v_fma_f64 v[252:253], v[40:41], v[224:225], -v[0:1]
	v_fmac_f64_e32 v[254:255], v[42:43], v[224:225]
	ds_read_b128 v[40:43], v26 offset:10752
	s_waitcnt vmcnt(12) lgkmcnt(1)
	v_mul_f64 v[0:1], v[54:55], v[230:231]
	v_mul_f64 v[226:227], v[52:53], v[230:231]
	v_fma_f64 v[224:225], v[52:53], v[228:229], -v[0:1]
	v_fmac_f64_e32 v[226:227], v[54:55], v[228:229]
	ds_write_b128 v26, v[224:227] offset:13440
	ds_read_b128 v[224:227], v26 offset:15232
	ds_read_b128 v[228:231], v26 offset:3584
	s_waitcnt vmcnt(11)
	v_mul_f64 v[0:1], v[50:51], v[234:235]
	v_mul_f64 v[54:55], v[48:49], v[234:235]
	v_fma_f64 v[52:53], v[48:49], v[232:233], -v[0:1]
	v_fmac_f64_e32 v[54:55], v[50:51], v[232:233]
	ds_read_b128 v[48:51], v26 offset:17024
	ds_write_b128 v26, v[52:55] offset:1792
	s_waitcnt vmcnt(10) lgkmcnt(3)
	v_mul_f64 v[0:1], v[226:227], v[238:239]
	v_mul_f64 v[54:55], v[224:225], v[238:239]
	v_fma_f64 v[52:53], v[224:225], v[236:237], -v[0:1]
	v_fmac_f64_e32 v[54:55], v[226:227], v[236:237]
	ds_write_b128 v26, v[52:55] offset:15232
	ds_read_b128 v[52:55], v26 offset:5376
	s_waitcnt vmcnt(9) lgkmcnt(4)
	v_mul_f64 v[0:1], v[230:231], v[242:243]
	v_mul_f64 v[226:227], v[228:229], v[242:243]
	v_fma_f64 v[224:225], v[228:229], v[240:241], -v[0:1]
	v_fmac_f64_e32 v[226:227], v[230:231], v[240:241]
	ds_write_b128 v26, v[224:227] offset:3584
	s_waitcnt vmcnt(8) lgkmcnt(4)
	v_mul_f64 v[0:1], v[50:51], v[246:247]
	v_mul_f64 v[226:227], v[48:49], v[246:247]
	v_fma_f64 v[224:225], v[48:49], v[244:245], -v[0:1]
	v_fmac_f64_e32 v[226:227], v[50:51], v[244:245]
	ds_write_b128 v26, v[224:227] offset:17024
	ds_read_b128 v[224:227], v26 offset:18816
	s_waitcnt vmcnt(7) lgkmcnt(3)
	v_mul_f64 v[0:1], v[54:55], v[250:251]
	v_mul_f64 v[50:51], v[52:53], v[250:251]
	v_fma_f64 v[48:49], v[52:53], v[248:249], -v[0:1]
	v_fmac_f64_e32 v[50:51], v[54:55], v[248:249]
	ds_read_b128 v[228:231], v26 offset:7168
	ds_write_b128 v26, v[48:51] offset:5376
	ds_read_b128 v[48:51], v26 offset:20608
	s_waitcnt vmcnt(6) lgkmcnt(3)
	v_mul_f64 v[0:1], v[226:227], v[8:9]
	v_mul_f64 v[54:55], v[224:225], v[8:9]
	v_fma_f64 v[52:53], v[224:225], v[6:7], -v[0:1]
	v_fmac_f64_e32 v[54:55], v[226:227], v[6:7]
	ds_read_b128 v[4:7], v26 offset:8960
	ds_write_b128 v26, v[52:55] offset:18816
	s_waitcnt vmcnt(5) lgkmcnt(4)
	v_mul_f64 v[0:1], v[230:231], v[12:13]
	v_mul_f64 v[54:55], v[228:229], v[12:13]
	v_fma_f64 v[52:53], v[228:229], v[10:11], -v[0:1]
	v_fmac_f64_e32 v[54:55], v[230:231], v[10:11]
	s_waitcnt vmcnt(4) lgkmcnt(2)
	v_mul_f64 v[0:1], v[50:51], v[16:17]
	v_mul_f64 v[10:11], v[48:49], v[16:17]
	v_fma_f64 v[8:9], v[48:49], v[14:15], -v[0:1]
	v_fmac_f64_e32 v[10:11], v[50:51], v[14:15]
	ds_read_b128 v[12:15], v26 offset:22400
	ds_write_b128 v26, v[8:11] offset:20608
	s_waitcnt vmcnt(3) lgkmcnt(3)
	v_mul_f64 v[0:1], v[6:7], v[20:21]
	v_mul_f64 v[10:11], v[4:5], v[20:21]
	v_fma_f64 v[8:9], v[4:5], v[18:19], -v[0:1]
	v_fmac_f64_e32 v[10:11], v[6:7], v[18:19]
	ds_read_b128 v[4:7], v26 offset:24192
	ds_write_b128 v26, v[8:11] offset:8960
	s_waitcnt vmcnt(2) lgkmcnt(3)
	v_mul_f64 v[0:1], v[14:15], v[34:35]
	v_mul_f64 v[10:11], v[12:13], v[34:35]
	v_fma_f64 v[8:9], v[12:13], v[32:33], -v[0:1]
	v_fmac_f64_e32 v[10:11], v[14:15], v[32:33]
	ds_write_b128 v26, v[8:11] offset:22400
	s_waitcnt vmcnt(1)
	v_mul_f64 v[0:1], v[42:43], v[38:39]
	v_mul_f64 v[10:11], v[40:41], v[38:39]
	v_fma_f64 v[8:9], v[40:41], v[36:37], -v[0:1]
	v_fmac_f64_e32 v[10:11], v[42:43], v[36:37]
	ds_write_b128 v26, v[8:11] offset:10752
	s_waitcnt vmcnt(0) lgkmcnt(3)
	v_mul_f64 v[0:1], v[6:7], v[46:47]
	v_mul_f64 v[10:11], v[4:5], v[46:47]
	v_fma_f64 v[8:9], v[4:5], v[44:45], -v[0:1]
	v_fmac_f64_e32 v[10:11], v[6:7], v[44:45]
	ds_write_b128 v26, v[252:255]
	ds_write_b128 v26, v[52:55] offset:7168
	ds_write_b128 v26, v[8:11] offset:24192
	s_and_saveexec_b64 s[0:1], s[4:5]
	s_cbranch_execz .LBB0_25
; %bb.24:
	v_add_co_u32_e32 v0, vcc, 0x3000, v2
	ds_read_b128 v[4:7], v26 offset:12544
	s_nop 0
	v_addc_co_u32_e32 v1, vcc, 0, v3, vcc
	global_load_dwordx4 v[8:11], v[0:1], off offset:256
	s_waitcnt vmcnt(0) lgkmcnt(0)
	v_mul_f64 v[0:1], v[6:7], v[10:11]
	v_fma_f64 v[12:13], v[4:5], v[8:9], -v[0:1]
	v_add_co_u32_e32 v0, vcc, s6, v2
	v_mul_f64 v[14:15], v[4:5], v[10:11]
	s_nop 0
	v_addc_co_u32_e32 v1, vcc, 0, v3, vcc
	global_load_dwordx4 v[0:3], v[0:1], off offset:1408
	v_fmac_f64_e32 v[14:15], v[6:7], v[8:9]
	ds_read_b128 v[4:7], v26 offset:25984
	ds_write_b128 v26, v[12:15] offset:12544
	s_waitcnt vmcnt(0) lgkmcnt(1)
	v_mul_f64 v[8:9], v[6:7], v[2:3]
	v_mul_f64 v[10:11], v[4:5], v[2:3]
	v_fma_f64 v[8:9], v[4:5], v[0:1], -v[8:9]
	v_fmac_f64_e32 v[10:11], v[6:7], v[0:1]
	ds_write_b128 v26, v[8:11] offset:25984
.LBB0_25:
	s_or_b64 exec, exec, s[0:1]
	s_waitcnt lgkmcnt(0)
	s_barrier
	ds_read_b128 v[16:19], v26
	ds_read_b128 v[8:11], v26 offset:1792
	ds_read_b128 v[12:15], v26 offset:15232
	;; [unrolled: 1-line block ×13, first 2 shown]
	s_and_saveexec_b64 s[0:1], s[4:5]
	s_cbranch_execz .LBB0_27
; %bb.26:
	ds_read_b128 v[220:223], v26 offset:12544
	ds_read_b128 v[216:219], v26 offset:25984
.LBB0_27:
	s_or_b64 exec, exec, s[0:1]
	s_waitcnt lgkmcnt(3)
	v_add_f64 v[20:21], v[16:17], -v[20:21]
	v_add_f64 v[22:23], v[18:19], -v[22:23]
	v_fma_f64 v[16:17], v[16:17], 2.0, -v[20:21]
	v_fma_f64 v[18:19], v[18:19], 2.0, -v[22:23]
	v_add_f64 v[12:13], v[8:9], -v[12:13]
	v_add_f64 v[14:15], v[10:11], -v[14:15]
	v_accvgpr_read_b32 v76, a58
	v_fma_f64 v[8:9], v[8:9], 2.0, -v[12:13]
	v_fma_f64 v[10:11], v[10:11], 2.0, -v[14:15]
	v_add_f64 v[4:5], v[252:253], -v[4:5]
	v_add_f64 v[6:7], v[254:255], -v[6:7]
	s_waitcnt lgkmcnt(0)
	s_barrier
	ds_write_b128 v76, v[16:19]
	ds_write_b128 v76, v[20:23] offset:16
	v_accvgpr_read_b32 v16, a60
	v_fma_f64 v[32:33], v[252:253], 2.0, -v[4:5]
	v_fma_f64 v[34:35], v[254:255], 2.0, -v[6:7]
	v_add_f64 v[36:37], v[244:245], -v[248:249]
	v_add_f64 v[38:39], v[246:247], -v[250:251]
	ds_write_b128 v16, v[8:11]
	ds_write_b128 v16, v[12:15] offset:16
	v_accvgpr_read_b32 v8, a62
	v_fma_f64 v[40:41], v[244:245], 2.0, -v[36:37]
	v_fma_f64 v[42:43], v[246:247], 2.0, -v[38:39]
	v_add_f64 v[44:45], v[236:237], -v[240:241]
	v_add_f64 v[46:47], v[238:239], -v[242:243]
	;; [unrolled: 7-line block ×4, first 2 shown]
	v_add_f64 v[224:225], v[220:221], -v[216:217]
	v_add_f64 v[226:227], v[222:223], -v[218:219]
	ds_write_b128 v4, v[48:51]
	ds_write_b128 v4, v[44:47] offset:16
	v_accvgpr_read_b32 v4, a65
	v_fma_f64 v[0:1], v[0:1], 2.0, -v[232:233]
	v_fma_f64 v[2:3], v[2:3], 2.0, -v[234:235]
	;; [unrolled: 1-line block ×4, first 2 shown]
	ds_write_b128 v4, v[228:231]
	ds_write_b128 v4, v[52:55] offset:16
	v_accvgpr_read_b32 v4, a66
	ds_write_b128 v4, v[0:3]
	ds_write_b128 v4, v[232:235] offset:16
	s_and_saveexec_b64 s[0:1], s[4:5]
	s_cbranch_execz .LBB0_29
; %bb.28:
	v_accvgpr_read_b32 v0, a59
	ds_write_b128 v0, v[216:219]
	ds_write_b128 v0, v[224:227] offset:16
.LBB0_29:
	s_or_b64 exec, exec, s[0:1]
	s_waitcnt lgkmcnt(0)
	s_barrier
	ds_read_b128 v[244:247], v26
	ds_read_b128 v[240:243], v26 offset:1792
	ds_read_b128 v[252:255], v26 offset:15232
	ds_read_b128 v[16:19], v26 offset:17024
	ds_read_b128 v[236:239], v26 offset:3584
	ds_read_b128 v[0:3], v26 offset:5376
	ds_read_b128 v[12:15], v26 offset:18816
	ds_read_b128 v[8:11], v26 offset:20608
	ds_read_b128 v[232:235], v26 offset:7168
	ds_read_b128 v[228:231], v26 offset:8960
	ds_read_b128 v[20:23], v26 offset:13440
	ds_read_b128 v[220:223], v26 offset:10752
	ds_read_b128 v[248:251], v26 offset:22400
	ds_read_b128 v[4:7], v26 offset:24192
	s_and_saveexec_b64 s[0:1], s[4:5]
	s_cbranch_execz .LBB0_31
; %bb.30:
	ds_read_b128 v[216:219], v26 offset:12544
	ds_read_b128 v[224:227], v26 offset:25984
.LBB0_31:
	s_or_b64 exec, exec, s[0:1]
	s_waitcnt lgkmcnt(3)
	v_mul_f64 v[32:33], v[58:59], v[22:23]
	v_mul_f64 v[44:45], v[58:59], v[10:11]
	s_waitcnt lgkmcnt(0)
	v_mul_f64 v[76:77], v[58:59], v[6:7]
	v_fmac_f64_e32 v[32:33], v[56:57], v[20:21]
	v_mul_f64 v[20:21], v[58:59], v[20:21]
	v_mul_f64 v[36:37], v[58:59], v[18:19]
	;; [unrolled: 1-line block ×3, first 2 shown]
	v_fmac_f64_e32 v[44:45], v[56:57], v[8:9]
	v_mul_f64 v[8:9], v[58:59], v[8:9]
	v_mul_f64 v[48:49], v[58:59], v[250:251]
	v_fmac_f64_e32 v[76:77], v[56:57], v[4:5]
	v_mul_f64 v[4:5], v[58:59], v[4:5]
	v_fma_f64 v[20:21], v[56:57], v[22:23], -v[20:21]
	v_mul_f64 v[22:23], v[58:59], v[254:255]
	v_mul_f64 v[34:35], v[58:59], v[252:253]
	v_fmac_f64_e32 v[36:37], v[56:57], v[16:17]
	v_mul_f64 v[16:17], v[58:59], v[16:17]
	v_fmac_f64_e32 v[40:41], v[56:57], v[12:13]
	v_mul_f64 v[12:13], v[58:59], v[12:13]
	v_fma_f64 v[46:47], v[56:57], v[10:11], -v[8:9]
	v_fmac_f64_e32 v[48:49], v[56:57], v[248:249]
	v_mul_f64 v[8:9], v[58:59], v[248:249]
	v_fma_f64 v[78:79], v[56:57], v[6:7], -v[4:5]
	v_mul_f64 v[248:249], v[58:59], v[226:227]
	v_mul_f64 v[4:5], v[58:59], v[224:225]
	v_fmac_f64_e32 v[22:23], v[56:57], v[252:253]
	v_fma_f64 v[34:35], v[56:57], v[254:255], -v[34:35]
	v_fma_f64 v[38:39], v[56:57], v[18:19], -v[16:17]
	;; [unrolled: 1-line block ×4, first 2 shown]
	v_fmac_f64_e32 v[248:249], v[56:57], v[224:225]
	v_fma_f64 v[56:57], v[56:57], v[226:227], -v[4:5]
	v_add_f64 v[4:5], v[244:245], -v[32:33]
	v_add_f64 v[6:7], v[246:247], -v[20:21]
	v_fma_f64 v[8:9], v[244:245], 2.0, -v[4:5]
	v_fma_f64 v[10:11], v[246:247], 2.0, -v[6:7]
	v_add_f64 v[12:13], v[240:241], -v[22:23]
	v_add_f64 v[14:15], v[242:243], -v[34:35]
	;; [unrolled: 1-line block ×3, first 2 shown]
	v_accvgpr_read_b32 v76, a67
	v_fma_f64 v[16:17], v[240:241], 2.0, -v[12:13]
	v_fma_f64 v[18:19], v[242:243], 2.0, -v[14:15]
	v_add_f64 v[20:21], v[236:237], -v[36:37]
	v_add_f64 v[22:23], v[238:239], -v[38:39]
	s_barrier
	ds_write_b128 v76, v[8:11]
	ds_write_b128 v76, v[4:7] offset:32
	v_accvgpr_read_b32 v4, a68
	v_fma_f64 v[32:33], v[236:237], 2.0, -v[20:21]
	v_fma_f64 v[34:35], v[238:239], 2.0, -v[22:23]
	v_add_f64 v[36:37], v[0:1], -v[40:41]
	v_add_f64 v[38:39], v[2:3], -v[42:43]
	ds_write_b128 v4, v[16:19]
	ds_write_b128 v4, v[12:15] offset:32
	v_accvgpr_read_b32 v4, a69
	v_fma_f64 v[0:1], v[0:1], 2.0, -v[36:37]
	v_fma_f64 v[2:3], v[2:3], 2.0, -v[38:39]
	v_add_f64 v[40:41], v[232:233], -v[44:45]
	v_add_f64 v[42:43], v[234:235], -v[46:47]
	;; [unrolled: 7-line block ×3, first 2 shown]
	v_add_f64 v[226:227], v[222:223], -v[78:79]
	ds_write_b128 v4, v[0:3]
	ds_write_b128 v4, v[36:39] offset:32
	v_accvgpr_read_b32 v0, a71
	v_fma_f64 v[52:53], v[228:229], 2.0, -v[48:49]
	v_fma_f64 v[54:55], v[230:231], 2.0, -v[50:51]
	;; [unrolled: 1-line block ×4, first 2 shown]
	v_add_f64 v[220:221], v[216:217], -v[248:249]
	v_add_f64 v[222:223], v[218:219], -v[56:57]
	ds_write_b128 v0, v[44:47]
	ds_write_b128 v0, v[40:43] offset:32
	v_accvgpr_read_b32 v0, a72
	v_fma_f64 v[56:57], v[216:217], 2.0, -v[220:221]
	v_fma_f64 v[58:59], v[218:219], 2.0, -v[222:223]
	ds_write_b128 v0, v[52:55]
	ds_write_b128 v0, v[48:51] offset:32
	v_accvgpr_read_b32 v0, a73
	ds_write_b128 v0, v[228:231]
	ds_write_b128 v0, v[224:227] offset:32
	s_and_saveexec_b64 s[0:1], s[4:5]
	s_cbranch_execz .LBB0_33
; %bb.32:
	s_movk_i32 s6, 0x6fc
	v_accvgpr_read_b32 v0, a56
	v_accvgpr_read_b32 v1, a57
	v_and_or_b32 v0, v0, s6, v1
	v_lshlrev_b32_e32 v0, 4, v0
	ds_write_b128 v0, v[56:59]
	ds_write_b128 v0, v[220:223] offset:32
.LBB0_33:
	s_or_b64 exec, exec, s[0:1]
	s_waitcnt lgkmcnt(0)
	s_barrier
	ds_read_b128 v[240:243], v26
	ds_read_b128 v[236:239], v26 offset:1792
	ds_read_b128 v[248:251], v26 offset:15232
	;; [unrolled: 1-line block ×13, first 2 shown]
	s_and_saveexec_b64 s[0:1], s[4:5]
	s_cbranch_execz .LBB0_35
; %bb.34:
	ds_read_b128 v[56:59], v26 offset:12544
	ds_read_b128 v[220:223], v26 offset:25984
.LBB0_35:
	s_or_b64 exec, exec, s[0:1]
	s_waitcnt lgkmcnt(6)
	v_mul_f64 v[44:45], v[62:63], v[10:11]
	s_waitcnt lgkmcnt(3)
	v_mul_f64 v[32:33], v[62:63], v[22:23]
	v_fmac_f64_e32 v[44:45], v[60:61], v[8:9]
	v_mul_f64 v[8:9], v[62:63], v[8:9]
	s_waitcnt lgkmcnt(1)
	v_mul_f64 v[48:49], v[62:63], v[246:247]
	s_waitcnt lgkmcnt(0)
	v_mul_f64 v[76:77], v[62:63], v[6:7]
	v_fmac_f64_e32 v[32:33], v[60:61], v[20:21]
	v_mul_f64 v[20:21], v[62:63], v[20:21]
	v_mul_f64 v[36:37], v[62:63], v[18:19]
	;; [unrolled: 1-line block ×3, first 2 shown]
	v_fma_f64 v[46:47], v[60:61], v[10:11], -v[8:9]
	v_fmac_f64_e32 v[48:49], v[60:61], v[244:245]
	v_mul_f64 v[8:9], v[62:63], v[244:245]
	v_fmac_f64_e32 v[76:77], v[60:61], v[4:5]
	v_mul_f64 v[4:5], v[62:63], v[4:5]
	v_mul_f64 v[244:245], v[62:63], v[222:223]
	v_fma_f64 v[20:21], v[60:61], v[22:23], -v[20:21]
	v_mul_f64 v[22:23], v[62:63], v[250:251]
	v_mul_f64 v[34:35], v[62:63], v[248:249]
	v_fmac_f64_e32 v[36:37], v[60:61], v[16:17]
	v_mul_f64 v[16:17], v[62:63], v[16:17]
	v_fmac_f64_e32 v[40:41], v[60:61], v[12:13]
	v_mul_f64 v[12:13], v[62:63], v[12:13]
	v_fma_f64 v[50:51], v[60:61], v[246:247], -v[8:9]
	v_fma_f64 v[78:79], v[60:61], v[6:7], -v[4:5]
	v_fmac_f64_e32 v[244:245], v[60:61], v[220:221]
	v_mul_f64 v[4:5], v[62:63], v[220:221]
	v_add_f64 v[48:49], v[224:225], -v[48:49]
	v_add_f64 v[220:221], v[216:217], -v[76:77]
	v_fmac_f64_e32 v[22:23], v[60:61], v[248:249]
	v_fma_f64 v[34:35], v[60:61], v[250:251], -v[34:35]
	v_fma_f64 v[38:39], v[60:61], v[18:19], -v[16:17]
	v_fma_f64 v[42:43], v[60:61], v[14:15], -v[12:13]
	v_fma_f64 v[60:61], v[60:61], v[222:223], -v[4:5]
	v_add_f64 v[4:5], v[240:241], -v[32:33]
	v_add_f64 v[6:7], v[242:243], -v[20:21]
	v_add_f64 v[50:51], v[226:227], -v[50:51]
	v_fma_f64 v[52:53], v[224:225], 2.0, -v[48:49]
	v_add_f64 v[222:223], v[218:219], -v[78:79]
	v_fma_f64 v[224:225], v[216:217], 2.0, -v[220:221]
	v_add_f64 v[216:217], v[56:57], -v[244:245]
	v_fma_f64 v[8:9], v[240:241], 2.0, -v[4:5]
	v_fma_f64 v[10:11], v[242:243], 2.0, -v[6:7]
	v_add_f64 v[12:13], v[236:237], -v[22:23]
	v_add_f64 v[14:15], v[238:239], -v[34:35]
	v_fma_f64 v[54:55], v[226:227], 2.0, -v[50:51]
	v_fma_f64 v[226:227], v[218:219], 2.0, -v[222:223]
	v_add_f64 v[218:219], v[58:59], -v[60:61]
	v_fma_f64 v[60:61], v[56:57], 2.0, -v[216:217]
	v_accvgpr_read_b32 v56, a74
	v_fma_f64 v[16:17], v[236:237], 2.0, -v[12:13]
	v_fma_f64 v[18:19], v[238:239], 2.0, -v[14:15]
	v_add_f64 v[20:21], v[232:233], -v[36:37]
	v_add_f64 v[22:23], v[234:235], -v[38:39]
	s_barrier
	ds_write_b128 v56, v[8:11]
	ds_write_b128 v56, v[4:7] offset:64
	v_accvgpr_read_b32 v4, a75
	v_fma_f64 v[32:33], v[232:233], 2.0, -v[20:21]
	v_fma_f64 v[34:35], v[234:235], 2.0, -v[22:23]
	v_add_f64 v[36:37], v[0:1], -v[40:41]
	v_add_f64 v[38:39], v[2:3], -v[42:43]
	ds_write_b128 v4, v[16:19]
	ds_write_b128 v4, v[12:15] offset:64
	v_accvgpr_read_b32 v4, a76
	v_fma_f64 v[0:1], v[0:1], 2.0, -v[36:37]
	v_fma_f64 v[2:3], v[2:3], 2.0, -v[38:39]
	v_add_f64 v[40:41], v[228:229], -v[44:45]
	v_add_f64 v[42:43], v[230:231], -v[46:47]
	ds_write_b128 v4, v[32:35]
	ds_write_b128 v4, v[20:23] offset:64
	v_accvgpr_read_b32 v4, a77
	v_fma_f64 v[44:45], v[228:229], 2.0, -v[40:41]
	v_fma_f64 v[46:47], v[230:231], 2.0, -v[42:43]
	ds_write_b128 v4, v[0:3]
	ds_write_b128 v4, v[36:39] offset:64
	v_accvgpr_read_b32 v0, a78
	ds_write_b128 v0, v[44:47]
	ds_write_b128 v0, v[40:43] offset:64
	v_accvgpr_read_b32 v0, a79
	v_fma_f64 v[62:63], v[58:59], 2.0, -v[218:219]
	ds_write_b128 v0, v[52:55]
	ds_write_b128 v0, v[48:51] offset:64
	v_accvgpr_read_b32 v0, a80
	ds_write_b128 v0, v[224:227]
	ds_write_b128 v0, v[220:223] offset:64
	s_and_saveexec_b64 s[0:1], s[4:5]
	s_cbranch_execz .LBB0_37
; %bb.36:
	s_movk_i32 s6, 0x6f8
	v_accvgpr_read_b32 v0, a56
	v_accvgpr_read_b32 v1, a61
	v_and_or_b32 v0, v0, s6, v1
	v_lshlrev_b32_e32 v0, 4, v0
	ds_write_b128 v0, v[60:63]
	ds_write_b128 v0, v[216:219] offset:64
.LBB0_37:
	s_or_b64 exec, exec, s[0:1]
	s_waitcnt lgkmcnt(0)
	s_barrier
	ds_read_b128 v[236:239], v26
	ds_read_b128 v[232:235], v26 offset:1792
	ds_read_b128 v[244:247], v26 offset:15232
	;; [unrolled: 1-line block ×13, first 2 shown]
	s_and_saveexec_b64 s[0:1], s[4:5]
	s_cbranch_execz .LBB0_39
; %bb.38:
	ds_read_b128 v[60:63], v26 offset:12544
	ds_read_b128 v[216:219], v26 offset:25984
.LBB0_39:
	s_or_b64 exec, exec, s[0:1]
	s_waitcnt lgkmcnt(3)
	v_mul_f64 v[32:33], v[66:67], v[22:23]
	v_mul_f64 v[44:45], v[66:67], v[10:11]
	s_waitcnt lgkmcnt(0)
	v_mul_f64 v[76:77], v[66:67], v[6:7]
	v_fmac_f64_e32 v[32:33], v[64:65], v[20:21]
	v_mul_f64 v[20:21], v[66:67], v[20:21]
	v_fmac_f64_e32 v[44:45], v[64:65], v[8:9]
	;; [unrolled: 2-line block ×3, first 2 shown]
	v_mul_f64 v[4:5], v[66:67], v[4:5]
	v_fma_f64 v[20:21], v[64:65], v[22:23], -v[20:21]
	v_mul_f64 v[22:23], v[66:67], v[246:247]
	v_mul_f64 v[34:35], v[66:67], v[244:245]
	;; [unrolled: 1-line block ×4, first 2 shown]
	v_fma_f64 v[46:47], v[64:65], v[10:11], -v[8:9]
	v_mul_f64 v[48:49], v[66:67], v[242:243]
	v_mul_f64 v[8:9], v[66:67], v[240:241]
	v_fma_f64 v[78:79], v[64:65], v[6:7], -v[4:5]
	v_mul_f64 v[4:5], v[66:67], v[216:217]
	v_fmac_f64_e32 v[22:23], v[64:65], v[244:245]
	v_fma_f64 v[34:35], v[64:65], v[246:247], -v[34:35]
	v_fmac_f64_e32 v[36:37], v[64:65], v[16:17]
	v_mul_f64 v[16:17], v[66:67], v[16:17]
	v_fmac_f64_e32 v[40:41], v[64:65], v[12:13]
	v_mul_f64 v[12:13], v[66:67], v[12:13]
	v_fmac_f64_e32 v[48:49], v[64:65], v[240:241]
	v_fma_f64 v[50:51], v[64:65], v[242:243], -v[8:9]
	v_mul_f64 v[240:241], v[66:67], v[218:219]
	v_fma_f64 v[242:243], v[64:65], v[218:219], -v[4:5]
	v_add_f64 v[4:5], v[236:237], -v[32:33]
	v_add_f64 v[6:7], v[238:239], -v[20:21]
	v_fma_f64 v[38:39], v[64:65], v[18:19], -v[16:17]
	v_fma_f64 v[42:43], v[64:65], v[14:15], -v[12:13]
	v_fmac_f64_e32 v[240:241], v[64:65], v[216:217]
	v_fma_f64 v[8:9], v[236:237], 2.0, -v[4:5]
	v_fma_f64 v[10:11], v[238:239], 2.0, -v[6:7]
	v_add_f64 v[12:13], v[232:233], -v[22:23]
	v_add_f64 v[14:15], v[234:235], -v[34:35]
	;; [unrolled: 1-line block ×3, first 2 shown]
	v_accvgpr_read_b32 v76, a84
	v_fma_f64 v[16:17], v[232:233], 2.0, -v[12:13]
	v_fma_f64 v[18:19], v[234:235], 2.0, -v[14:15]
	v_add_f64 v[20:21], v[228:229], -v[36:37]
	v_add_f64 v[22:23], v[230:231], -v[38:39]
	s_barrier
	ds_write_b128 v76, v[8:11]
	ds_write_b128 v76, v[4:7] offset:128
	v_accvgpr_read_b32 v4, a83
	v_fma_f64 v[32:33], v[228:229], 2.0, -v[20:21]
	v_fma_f64 v[34:35], v[230:231], 2.0, -v[22:23]
	v_add_f64 v[36:37], v[0:1], -v[40:41]
	v_add_f64 v[38:39], v[2:3], -v[42:43]
	ds_write_b128 v4, v[16:19]
	ds_write_b128 v4, v[12:15] offset:128
	v_accvgpr_read_b32 v4, a82
	v_fma_f64 v[0:1], v[0:1], 2.0, -v[36:37]
	v_fma_f64 v[2:3], v[2:3], 2.0, -v[38:39]
	v_add_f64 v[40:41], v[224:225], -v[44:45]
	v_add_f64 v[42:43], v[226:227], -v[46:47]
	;; [unrolled: 7-line block ×3, first 2 shown]
	ds_write_b128 v4, v[0:3]
	ds_write_b128 v4, v[36:39] offset:128
	v_accvgpr_read_b32 v0, a85
	v_fma_f64 v[52:53], v[220:221], 2.0, -v[48:49]
	v_fma_f64 v[54:55], v[222:223], 2.0, -v[50:51]
	v_add_f64 v[66:67], v[58:59], -v[78:79]
	ds_write_b128 v0, v[44:47]
	ds_write_b128 v0, v[40:43] offset:128
	v_accvgpr_read_b32 v0, a86
	v_fma_f64 v[216:217], v[56:57], 2.0, -v[64:65]
	v_fma_f64 v[218:219], v[58:59], 2.0, -v[66:67]
	v_add_f64 v[56:57], v[60:61], -v[240:241]
	v_add_f64 v[58:59], v[62:63], -v[242:243]
	ds_write_b128 v0, v[52:55]
	ds_write_b128 v0, v[48:51] offset:128
	v_accvgpr_read_b32 v0, a87
	ds_write_b128 v0, v[216:219]
	ds_write_b128 v0, v[64:67] offset:128
	s_and_saveexec_b64 s[0:1], s[4:5]
	s_cbranch_execz .LBB0_41
; %bb.40:
	s_movk_i32 s6, 0x6f0
	v_accvgpr_read_b32 v4, a56
	v_and_or_b32 v4, v4, s6, v27
	v_fma_f64 v[2:3], v[62:63], 2.0, -v[58:59]
	v_fma_f64 v[0:1], v[60:61], 2.0, -v[56:57]
	v_lshlrev_b32_e32 v4, 4, v4
	ds_write_b128 v4, v[0:3]
	ds_write_b128 v4, v[56:59] offset:128
.LBB0_41:
	s_or_b64 exec, exec, s[0:1]
	s_waitcnt lgkmcnt(0)
	s_barrier
	ds_read_b128 v[64:67], v26
	ds_read_b128 v[216:219], v26 offset:1792
	ds_read_b128 v[0:3], v26 offset:17920
	;; [unrolled: 1-line block ×14, first 2 shown]
	s_waitcnt lgkmcnt(4)
	v_mul_f64 v[48:49], v[74:75], v[34:35]
	v_fmac_f64_e32 v[48:49], v[72:73], v[32:33]
	v_mul_f64 v[32:33], v[74:75], v[32:33]
	v_fma_f64 v[32:33], v[72:73], v[34:35], -v[32:33]
	v_mul_f64 v[34:35], v[70:71], v[2:3]
	v_fmac_f64_e32 v[34:35], v[68:69], v[0:1]
	v_mul_f64 v[0:1], v[70:71], v[0:1]
	v_fma_f64 v[50:51], v[68:69], v[2:3], -v[0:1]
	v_mul_f64 v[0:1], v[74:75], v[8:9]
	v_fma_f64 v[54:55], v[72:73], v[10:11], -v[0:1]
	;; [unrolled: 2-line block ×5, first 2 shown]
	s_waitcnt lgkmcnt(2)
	v_mul_f64 v[0:1], v[74:75], v[36:37]
	v_mul_f64 v[236:237], v[74:75], v[38:39]
	v_fma_f64 v[38:39], v[72:73], v[38:39], -v[0:1]
	v_mul_f64 v[0:1], v[70:71], v[20:21]
	v_mul_f64 v[52:53], v[74:75], v[10:11]
	;; [unrolled: 1-line block ×3, first 2 shown]
	v_fma_f64 v[240:241], v[68:69], v[22:23], -v[0:1]
	s_waitcnt lgkmcnt(1)
	v_mul_f64 v[242:243], v[74:75], v[42:43]
	v_mul_f64 v[0:1], v[74:75], v[40:41]
	v_fmac_f64_e32 v[52:53], v[72:73], v[8:9]
	v_mul_f64 v[76:77], v[70:71], v[6:7]
	v_fmac_f64_e32 v[228:229], v[72:73], v[12:13]
	v_fmac_f64_e32 v[236:237], v[72:73], v[36:37]
	;; [unrolled: 1-line block ×3, first 2 shown]
	v_fma_f64 v[72:73], v[72:73], v[42:43], -v[0:1]
	s_waitcnt lgkmcnt(0)
	v_mul_f64 v[0:1], v[70:71], v[44:45]
	v_add_f64 v[2:3], v[48:49], v[34:35]
	s_mov_b32 s0, 0xe8584caa
	v_fmac_f64_e32 v[76:77], v[68:69], v[4:5]
	v_mul_f64 v[74:75], v[70:71], v[46:47]
	v_fma_f64 v[46:47], v[68:69], v[46:47], -v[0:1]
	v_add_f64 v[0:1], v[64:65], v[48:49]
	v_fmac_f64_e32 v[64:65], -0.5, v[2:3]
	v_add_f64 v[2:3], v[32:33], -v[50:51]
	s_mov_b32 s1, 0xbfebb67a
	s_mov_b32 s7, 0x3febb67a
	;; [unrolled: 1-line block ×3, first 2 shown]
	v_add_f64 v[6:7], v[32:33], v[50:51]
	v_mul_f64 v[232:233], v[70:71], v[18:19]
	v_fma_f64 v[4:5], s[0:1], v[2:3], v[64:65]
	v_fmac_f64_e32 v[64:65], s[6:7], v[2:3]
	v_add_f64 v[2:3], v[66:67], v[32:33]
	v_fmac_f64_e32 v[66:67], -0.5, v[6:7]
	v_add_f64 v[8:9], v[48:49], -v[34:35]
	v_add_f64 v[10:11], v[52:53], v[76:77]
	v_fmac_f64_e32 v[232:233], v[68:69], v[16:17]
	v_fma_f64 v[6:7], s[6:7], v[8:9], v[66:67]
	v_fmac_f64_e32 v[66:67], s[0:1], v[8:9]
	v_add_f64 v[8:9], v[216:217], v[52:53]
	v_fmac_f64_e32 v[216:217], -0.5, v[10:11]
	v_add_f64 v[10:11], v[54:55], -v[78:79]
	v_add_f64 v[14:15], v[54:55], v[78:79]
	v_mul_f64 v[238:239], v[70:71], v[22:23]
	v_fma_f64 v[12:13], s[0:1], v[10:11], v[216:217]
	v_fmac_f64_e32 v[216:217], s[6:7], v[10:11]
	v_add_f64 v[10:11], v[218:219], v[54:55]
	v_fmac_f64_e32 v[218:219], -0.5, v[14:15]
	v_add_f64 v[16:17], v[52:53], -v[76:77]
	v_add_f64 v[18:19], v[228:229], v[232:233]
	v_fmac_f64_e32 v[238:239], v[68:69], v[20:21]
	v_fma_f64 v[14:15], s[6:7], v[16:17], v[218:219]
	v_fmac_f64_e32 v[218:219], s[0:1], v[16:17]
	v_add_f64 v[16:17], v[220:221], v[228:229]
	v_fmac_f64_e32 v[220:221], -0.5, v[18:19]
	v_add_f64 v[18:19], v[230:231], -v[234:235]
	v_add_f64 v[22:23], v[230:231], v[234:235]
	v_add_f64 v[0:1], v[0:1], v[34:35]
	v_fma_f64 v[20:21], s[0:1], v[18:19], v[220:221]
	v_fmac_f64_e32 v[220:221], s[6:7], v[18:19]
	v_add_f64 v[18:19], v[222:223], v[230:231]
	v_fmac_f64_e32 v[222:223], -0.5, v[22:23]
	v_add_f64 v[32:33], v[228:229], -v[232:233]
	v_add_f64 v[34:35], v[236:237], v[238:239]
	v_fma_f64 v[22:23], s[6:7], v[32:33], v[222:223]
	v_fmac_f64_e32 v[222:223], s[0:1], v[32:33]
	v_add_f64 v[32:33], v[224:225], v[236:237]
	v_fmac_f64_e32 v[224:225], -0.5, v[34:35]
	v_add_f64 v[34:35], v[38:39], -v[240:241]
	v_fmac_f64_e32 v[74:75], v[68:69], v[44:45]
	v_fma_f64 v[36:37], s[0:1], v[34:35], v[224:225]
	v_fmac_f64_e32 v[224:225], s[6:7], v[34:35]
	v_add_f64 v[34:35], v[226:227], v[38:39]
	v_add_f64 v[38:39], v[38:39], v[240:241]
	v_add_f64 v[2:3], v[2:3], v[50:51]
	v_fmac_f64_e32 v[226:227], -0.5, v[38:39]
	v_add_f64 v[40:41], v[236:237], -v[238:239]
	v_add_f64 v[42:43], v[242:243], v[74:75]
	v_accvgpr_read_b32 v27, a92
	v_add_f64 v[8:9], v[8:9], v[76:77]
	v_add_f64 v[10:11], v[10:11], v[78:79]
	v_fma_f64 v[38:39], s[6:7], v[40:41], v[226:227]
	v_fmac_f64_e32 v[226:227], s[0:1], v[40:41]
	v_add_f64 v[40:41], v[60:61], v[242:243]
	v_fmac_f64_e32 v[60:61], -0.5, v[42:43]
	v_add_f64 v[42:43], v[72:73], -v[46:47]
	s_barrier
	ds_write_b128 v27, v[0:3]
	ds_write_b128 v27, v[4:7] offset:256
	ds_write_b128 v27, v[64:67] offset:512
	v_accvgpr_read_b32 v0, a93
	v_add_f64 v[16:17], v[16:17], v[232:233]
	v_add_f64 v[18:19], v[18:19], v[234:235]
	v_fma_f64 v[44:45], s[0:1], v[42:43], v[60:61]
	v_fmac_f64_e32 v[60:61], s[6:7], v[42:43]
	v_add_f64 v[42:43], v[62:63], v[72:73]
	ds_write_b128 v0, v[8:11]
	ds_write_b128 v0, v[12:15] offset:256
	ds_write_b128 v0, v[216:219] offset:512
	v_accvgpr_read_b32 v0, a94
	v_add_f64 v[32:33], v[32:33], v[238:239]
	v_add_f64 v[34:35], v[34:35], v[240:241]
	;; [unrolled: 1-line block ×4, first 2 shown]
	ds_write_b128 v0, v[16:19]
	ds_write_b128 v0, v[20:23] offset:256
	ds_write_b128 v0, v[220:223] offset:512
	v_accvgpr_read_b32 v0, a95
	v_add_f64 v[40:41], v[40:41], v[74:75]
	v_fmac_f64_e32 v[62:63], -0.5, v[46:47]
	v_add_f64 v[48:49], v[242:243], -v[74:75]
	ds_write_b128 v0, v[32:35]
	ds_write_b128 v0, v[36:39] offset:256
	ds_write_b128 v0, v[224:227] offset:512
	v_accvgpr_read_b32 v0, a96
	v_fma_f64 v[46:47], s[6:7], v[48:49], v[62:63]
	v_fmac_f64_e32 v[62:63], s[0:1], v[48:49]
	ds_write_b128 v0, v[40:43]
	ds_write_b128 v0, v[44:47] offset:256
	ds_write_b128 v0, v[60:63] offset:512
	s_waitcnt lgkmcnt(0)
	s_barrier
	ds_read_b128 v[68:71], v26
	ds_read_b128 v[64:67], v26 offset:1792
	ds_read_b128 v[0:3], v26 offset:3840
	;; [unrolled: 1-line block ×13, first 2 shown]
	s_and_saveexec_b64 s[0:1], s[2:3]
	s_cbranch_execz .LBB0_43
; %bb.42:
	ds_read_b128 v[60:63], v26 offset:3584
	ds_read_b128 v[56:59], v26 offset:7424
	;; [unrolled: 1-line block ×7, first 2 shown]
.LBB0_43:
	s_or_b64 exec, exec, s[0:1]
	s_waitcnt lgkmcnt(11)
	v_mul_f64 v[4:5], v[110:111], v[2:3]
	v_fmac_f64_e32 v[4:5], v[108:109], v[0:1]
	v_mul_f64 v[0:1], v[110:111], v[0:1]
	v_fma_f64 v[0:1], v[108:109], v[2:3], -v[0:1]
	s_waitcnt lgkmcnt(9)
	v_mul_f64 v[2:3], v[106:107], v[254:255]
	s_waitcnt lgkmcnt(3)
	v_mul_f64 v[16:17], v[122:123], v[242:243]
	;; [unrolled: 2-line block ×3, first 2 shown]
	v_fmac_f64_e32 v[2:3], v[104:105], v[252:253]
	v_mul_f64 v[6:7], v[106:107], v[252:253]
	v_mul_f64 v[8:9], v[102:103], v[250:251]
	;; [unrolled: 1-line block ×3, first 2 shown]
	v_fmac_f64_e32 v[16:17], v[120:121], v[240:241]
	v_mul_f64 v[18:19], v[122:123], v[240:241]
	v_fmac_f64_e32 v[20:21], v[116:117], v[236:237]
	v_mul_f64 v[22:23], v[118:119], v[236:237]
	s_waitcnt lgkmcnt(0)
	v_mul_f64 v[52:53], v[138:139], v[74:75]
	v_fma_f64 v[6:7], v[104:105], v[254:255], -v[6:7]
	v_fmac_f64_e32 v[8:9], v[100:101], v[248:249]
	v_mul_f64 v[10:11], v[102:103], v[248:249]
	v_fmac_f64_e32 v[12:13], v[96:97], v[244:245]
	v_mul_f64 v[14:15], v[98:99], v[244:245]
	v_fma_f64 v[18:19], v[120:121], v[242:243], -v[18:19]
	v_fma_f64 v[22:23], v[116:117], v[238:239], -v[22:23]
	v_fmac_f64_e32 v[52:53], v[136:137], v[72:73]
	v_mul_f64 v[54:55], v[138:139], v[72:73]
	v_add_f64 v[72:73], v[4:5], v[20:21]
	v_add_f64 v[4:5], v[4:5], -v[20:21]
	v_add_f64 v[20:21], v[2:3], v[16:17]
	v_fma_f64 v[10:11], v[100:101], v[250:251], -v[10:11]
	v_fma_f64 v[14:15], v[96:97], v[246:247], -v[14:15]
	;; [unrolled: 1-line block ×3, first 2 shown]
	v_add_f64 v[74:75], v[0:1], v[22:23]
	v_add_f64 v[0:1], v[0:1], -v[22:23]
	v_add_f64 v[22:23], v[6:7], v[18:19]
	v_add_f64 v[2:3], v[2:3], -v[16:17]
	v_add_f64 v[16:17], v[8:9], v[12:13]
	v_add_f64 v[8:9], v[12:13], -v[8:9]
	v_add_f64 v[12:13], v[20:21], v[72:73]
	v_add_f64 v[6:7], v[6:7], -v[18:19]
	v_add_f64 v[18:19], v[10:11], v[14:15]
	v_add_f64 v[10:11], v[14:15], -v[10:11]
	v_add_f64 v[14:15], v[22:23], v[74:75]
	v_add_f64 v[12:13], v[16:17], v[12:13]
	;; [unrolled: 1-line block ×4, first 2 shown]
	s_mov_b32 s14, 0x37e14327
	s_mov_b32 s16, 0x36b3c0b5
	;; [unrolled: 1-line block ×3, first 2 shown]
	v_add_f64 v[76:77], v[20:21], -v[72:73]
	v_add_f64 v[78:79], v[22:23], -v[74:75]
	;; [unrolled: 1-line block ×6, first 2 shown]
	v_add_f64 v[70:71], v[70:71], v[14:15]
	s_mov_b32 s15, 0x3fe948f6
	s_mov_b32 s17, 0x3fac98ee
	;; [unrolled: 1-line block ×5, first 2 shown]
	v_mov_b64_e32 v[104:105], v[68:69]
	s_mov_b32 s6, 0x5476071b
	v_mul_f64 v[32:33], v[142:143], v[234:235]
	v_mul_f64 v[36:37], v[134:135], v[230:231]
	;; [unrolled: 1-line block ×3, first 2 shown]
	v_add_f64 v[96:97], v[8:9], v[2:3]
	v_add_f64 v[98:99], v[10:11], v[6:7]
	v_add_f64 v[100:101], v[8:9], -v[2:3]
	v_add_f64 v[102:103], v[10:11], -v[6:7]
	;; [unrolled: 1-line block ×4, first 2 shown]
	v_mul_f64 v[16:17], v[72:73], s[14:15]
	v_mul_f64 v[18:19], v[74:75], s[14:15]
	;; [unrolled: 1-line block ×4, first 2 shown]
	s_mov_b32 s19, 0x3fe11646
	s_mov_b32 s1, 0xbfebfeb5
	v_fmac_f64_e32 v[104:105], s[26:27], v[12:13]
	v_mov_b64_e32 v[12:13], v[70:71]
	s_mov_b32 s7, 0x3fe77f67
	s_mov_b32 s21, 0xbfe77f67
	;; [unrolled: 1-line block ×4, first 2 shown]
	v_fmac_f64_e32 v[32:33], v[140:141], v[232:233]
	v_mul_f64 v[34:35], v[142:143], v[232:233]
	v_fmac_f64_e32 v[36:37], v[132:133], v[228:229]
	v_mul_f64 v[38:39], v[134:135], v[228:229]
	v_mul_f64 v[40:41], v[130:131], v[226:227]
	;; [unrolled: 1-line block ×3, first 2 shown]
	v_fmac_f64_e32 v[48:49], v[144:145], v[216:217]
	v_mul_f64 v[50:51], v[146:147], v[216:217]
	v_add_f64 v[8:9], v[4:5], -v[8:9]
	v_add_f64 v[10:11], v[0:1], -v[10:11]
	v_add_f64 v[4:5], v[96:97], v[4:5]
	v_add_f64 v[0:1], v[98:99], v[0:1]
	v_mul_f64 v[96:97], v[100:101], s[18:19]
	v_mul_f64 v[98:99], v[102:103], s[18:19]
	v_mul_f64 v[100:101], v[2:3], s[0:1]
	v_mul_f64 v[102:103], v[6:7], s[0:1]
	v_fmac_f64_e32 v[12:13], s[26:27], v[14:15]
	v_fma_f64 v[14:15], v[76:77], s[6:7], -v[72:73]
	v_fma_f64 v[72:73], v[78:79], s[6:7], -v[74:75]
	;; [unrolled: 1-line block ×3, first 2 shown]
	v_fmac_f64_e32 v[16:17], s[16:17], v[20:21]
	s_mov_b32 s29, 0xbfd5d0dc
	s_mov_b32 s25, 0x3fd5d0dc
	;; [unrolled: 1-line block ×4, first 2 shown]
	v_fma_f64 v[34:35], v[140:141], v[234:235], -v[34:35]
	v_fma_f64 v[38:39], v[132:133], v[230:231], -v[38:39]
	v_fmac_f64_e32 v[40:41], v[128:129], v[224:225]
	v_mul_f64 v[42:43], v[130:131], v[224:225]
	v_fmac_f64_e32 v[44:45], v[124:125], v[220:221]
	v_mul_f64 v[46:47], v[126:127], v[220:221]
	v_fma_f64 v[50:51], v[144:145], v[218:219], -v[50:51]
	v_fma_f64 v[20:21], v[78:79], s[20:21], -v[18:19]
	v_fmac_f64_e32 v[18:19], s[16:17], v[22:23]
	v_fma_f64 v[22:23], v[2:3], s[0:1], -v[96:97]
	v_fmac_f64_e32 v[96:97], s[28:29], v[8:9]
	v_fma_f64 v[76:77], v[6:7], s[0:1], -v[98:99]
	v_fma_f64 v[78:79], v[8:9], s[24:25], -v[100:101]
	;; [unrolled: 1-line block ×3, first 2 shown]
	v_add_f64 v[102:103], v[16:17], v[104:105]
	v_add_f64 v[16:17], v[72:73], v[12:13]
	s_mov_b32 s23, 0xbfdc38aa
	v_add_f64 v[72:73], v[32:33], v[52:53]
	v_add_f64 v[32:33], v[32:33], -v[52:53]
	v_add_f64 v[52:53], v[36:37], v[48:49]
	v_fma_f64 v[42:43], v[128:129], v[226:227], -v[42:43]
	v_fma_f64 v[46:47], v[124:125], v[222:223], -v[46:47]
	v_fmac_f64_e32 v[98:99], s[28:29], v[10:11]
	v_add_f64 v[106:107], v[18:19], v[12:13]
	v_add_f64 v[14:15], v[14:15], v[104:105]
	;; [unrolled: 1-line block ×3, first 2 shown]
	v_fmac_f64_e32 v[96:97], s[22:23], v[4:5]
	v_fmac_f64_e32 v[22:23], s[22:23], v[4:5]
	;; [unrolled: 1-line block ×3, first 2 shown]
	v_add_f64 v[74:75], v[34:35], v[54:55]
	v_add_f64 v[34:35], v[34:35], -v[54:55]
	v_add_f64 v[54:55], v[38:39], v[50:51]
	v_add_f64 v[36:37], v[36:37], -v[48:49]
	;; [unrolled: 2-line block ×3, first 2 shown]
	v_add_f64 v[44:45], v[52:53], v[72:73]
	v_add_f64 v[20:21], v[20:21], v[12:13]
	v_fmac_f64_e32 v[98:99], s[22:23], v[0:1]
	v_fmac_f64_e32 v[78:79], s[22:23], v[4:5]
	;; [unrolled: 1-line block ×3, first 2 shown]
	v_add_f64 v[2:3], v[106:107], -v[96:97]
	v_add_f64 v[8:9], v[14:15], -v[76:77]
	v_add_f64 v[10:11], v[22:23], v[16:17]
	v_add_f64 v[12:13], v[76:77], v[14:15]
	v_add_f64 v[14:15], v[16:17], -v[22:23]
	v_add_f64 v[22:23], v[96:97], v[106:107]
	v_add_f64 v[38:39], v[38:39], -v[50:51]
	;; [unrolled: 2-line block ×3, first 2 shown]
	v_add_f64 v[46:47], v[54:55], v[74:75]
	v_add_f64 v[96:97], v[40:41], v[36:37]
	;; [unrolled: 1-line block ×5, first 2 shown]
	v_add_f64 v[6:7], v[20:21], -v[78:79]
	v_add_f64 v[16:17], v[18:19], -v[100:101]
	v_add_f64 v[18:19], v[78:79], v[20:21]
	v_add_f64 v[20:21], v[102:103], -v[98:99]
	v_add_f64 v[76:77], v[52:53], -v[72:73]
	;; [unrolled: 1-line block ×4, first 2 shown]
	v_add_f64 v[98:99], v[42:43], v[38:39]
	v_add_f64 v[100:101], v[40:41], -v[36:37]
	v_add_f64 v[40:41], v[32:33], -v[40:41]
	v_add_f64 v[36:37], v[36:37], -v[32:33]
	v_add_f64 v[46:47], v[50:51], v[46:47]
	v_add_f64 v[48:49], v[96:97], v[32:33]
	;; [unrolled: 1-line block ×3, first 2 shown]
	v_add_f64 v[78:79], v[54:55], -v[74:75]
	v_add_f64 v[74:75], v[74:75], -v[50:51]
	;; [unrolled: 1-line block ×6, first 2 shown]
	v_add_f64 v[50:51], v[98:99], v[34:35]
	v_add_f64 v[34:35], v[66:67], v[46:47]
	v_mov_b64_e32 v[104:105], v[32:33]
	v_mul_f64 v[64:65], v[72:73], s[14:15]
	v_mul_f64 v[66:67], v[74:75], s[14:15]
	;; [unrolled: 1-line block ×8, first 2 shown]
	v_fmac_f64_e32 v[104:105], s[26:27], v[44:45]
	v_mov_b64_e32 v[44:45], v[34:35]
	v_fmac_f64_e32 v[44:45], s[26:27], v[46:47]
	v_fma_f64 v[46:47], v[76:77], s[6:7], -v[72:73]
	v_fma_f64 v[72:73], v[78:79], s[6:7], -v[74:75]
	;; [unrolled: 1-line block ×3, first 2 shown]
	v_fmac_f64_e32 v[64:65], s[16:17], v[52:53]
	v_fma_f64 v[52:53], v[78:79], s[20:21], -v[66:67]
	v_fmac_f64_e32 v[66:67], s[16:17], v[54:55]
	v_fma_f64 v[54:55], v[36:37], s[0:1], -v[96:97]
	v_fmac_f64_e32 v[96:97], s[28:29], v[40:41]
	v_fma_f64 v[76:77], v[38:39], s[0:1], -v[98:99]
	v_fmac_f64_e32 v[98:99], s[28:29], v[42:43]
	v_fma_f64 v[78:79], v[40:41], s[24:25], -v[100:101]
	v_fma_f64 v[100:101], v[42:43], s[24:25], -v[102:103]
	v_add_f64 v[64:65], v[64:65], v[104:105]
	v_add_f64 v[66:67], v[66:67], v[44:45]
	;; [unrolled: 1-line block ×6, first 2 shown]
	v_fmac_f64_e32 v[96:97], s[22:23], v[48:49]
	v_fmac_f64_e32 v[98:99], s[22:23], v[50:51]
	;; [unrolled: 1-line block ×6, first 2 shown]
	v_add_f64 v[36:37], v[98:99], v[64:65]
	v_add_f64 v[38:39], v[66:67], -v[96:97]
	v_add_f64 v[40:41], v[100:101], v[74:75]
	v_add_f64 v[42:43], v[104:105], -v[78:79]
	v_add_f64 v[44:45], v[102:103], -v[76:77]
	v_add_f64 v[46:47], v[54:55], v[72:73]
	v_add_f64 v[48:49], v[76:77], v[102:103]
	v_add_f64 v[50:51], v[72:73], -v[54:55]
	v_add_f64 v[52:53], v[74:75], -v[100:101]
	v_add_f64 v[54:55], v[78:79], v[104:105]
	v_add_f64 v[64:65], v[64:65], -v[98:99]
	v_add_f64 v[66:67], v[96:97], v[66:67]
	s_barrier
	ds_write_b128 v31, v[68:71]
	ds_write_b128 v31, v[0:3] offset:768
	ds_write_b128 v31, v[4:7] offset:1536
	;; [unrolled: 1-line block ×6, first 2 shown]
	ds_write_b128 v29, v[32:35]
	ds_write_b128 v29, v[36:39] offset:768
	ds_write_b128 v29, v[40:43] offset:1536
	;; [unrolled: 1-line block ×6, first 2 shown]
	s_and_saveexec_b64 s[30:31], s[2:3]
	s_cbranch_execz .LBB0_45
; %bb.44:
	v_accvgpr_read_b32 v50, a88
	v_accvgpr_read_b32 v52, a90
	;; [unrolled: 1-line block ×3, first 2 shown]
	v_mul_f64 v[0:1], v[90:91], v[58:59]
	v_mul_f64 v[4:5], v[94:95], v[198:199]
	v_accvgpr_read_b32 v51, a89
	v_mul_f64 v[10:11], v[52:53], v[174:175]
	v_mul_f64 v[12:13], v[82:83], v[170:171]
	;; [unrolled: 1-line block ×4, first 2 shown]
	v_fmac_f64_e32 v[0:1], v[88:89], v[56:57]
	v_fmac_f64_e32 v[4:5], v[92:93], v[196:197]
	v_fmac_f64_e32 v[10:11], v[50:51], v[172:173]
	v_fmac_f64_e32 v[12:13], v[80:81], v[168:169]
	v_fmac_f64_e32 v[16:17], v[84:85], v[164:165]
	v_fmac_f64_e32 v[18:19], v[112:113], v[180:181]
	v_add_f64 v[8:9], v[0:1], -v[4:5]
	v_add_f64 v[2:3], v[10:11], -v[12:13]
	;; [unrolled: 1-line block ×5, first 2 shown]
	v_add_f64 v[2:3], v[2:3], v[20:21]
	v_add_f64 v[34:35], v[2:3], v[8:9]
	v_mul_f64 v[2:3], v[94:95], v[196:197]
	v_fma_f64 v[36:37], v[92:93], v[198:199], -v[2:3]
	v_mul_f64 v[2:3], v[90:91], v[56:57]
	v_fma_f64 v[38:39], v[88:89], v[58:59], -v[2:3]
	v_mul_f64 v[2:3], v[114:115], v[180:181]
	v_mul_f64 v[22:23], v[6:7], s[18:19]
	v_fma_f64 v[42:43], v[112:113], v[182:183], -v[2:3]
	v_mul_f64 v[2:3], v[86:87], v[164:165]
	v_mul_f64 v[6:7], v[82:83], v[168:169]
	v_fma_f64 v[44:45], v[84:85], v[166:167], -v[2:3]
	v_fma_f64 v[48:49], v[80:81], v[170:171], -v[6:7]
	v_mul_f64 v[6:7], v[52:53], v[172:173]
	v_add_f64 v[40:41], v[38:39], v[36:37]
	v_add_f64 v[46:47], v[44:45], v[42:43]
	v_fma_f64 v[50:51], v[50:51], v[174:175], -v[6:7]
	v_add_f64 v[2:3], v[46:47], v[40:41]
	v_add_f64 v[6:7], v[48:49], v[50:51]
	;; [unrolled: 1-line block ×10, first 2 shown]
	v_mov_b64_e32 v[12:13], v[0:1]
	v_mov_b64_e32 v[54:55], v[2:3]
	v_fmac_f64_e32 v[12:13], s[26:27], v[10:11]
	v_add_f64 v[10:11], v[62:63], -v[4:5]
	v_add_f64 v[20:21], v[20:21], -v[8:9]
	v_fmac_f64_e32 v[54:55], s[26:27], v[52:53]
	v_add_f64 v[52:53], v[40:41], -v[6:7]
	v_mul_f64 v[18:19], v[10:11], s[14:15]
	v_add_f64 v[4:5], v[4:5], -v[16:17]
	v_mul_f64 v[8:9], v[20:21], s[0:1]
	v_fma_f64 v[32:33], s[28:29], v[14:15], v[22:23]
	v_mul_f64 v[52:53], v[52:53], s[14:15]
	v_mul_f64 v[60:61], v[4:5], s[16:17]
	v_fma_f64 v[4:5], s[16:17], v[4:5], v[18:19]
	v_fma_f64 v[66:67], v[14:15], s[24:25], -v[8:9]
	v_add_f64 v[14:15], v[46:47], -v[40:41]
	v_add_f64 v[64:65], v[4:5], v[12:13]
	v_add_f64 v[36:37], v[38:39], -v[36:37]
	v_add_f64 v[4:5], v[50:51], -v[48:49]
	;; [unrolled: 1-line block ×3, first 2 shown]
	v_fma_f64 v[8:9], v[14:15], s[20:21], -v[52:53]
	v_add_f64 v[16:17], v[16:17], -v[62:63]
	v_add_f64 v[6:7], v[6:7], -v[46:47]
	;; [unrolled: 1-line block ×3, first 2 shown]
	v_add_f64 v[40:41], v[8:9], v[54:55]
	v_fma_f64 v[8:9], v[16:17], s[20:21], -v[18:19]
	v_add_f64 v[18:19], v[42:43], -v[36:37]
	v_mul_f64 v[56:57], v[6:7], s[16:17]
	v_add_f64 v[38:39], v[36:37], -v[4:5]
	v_mul_f64 v[44:45], v[10:11], s[18:19]
	v_add_f64 v[4:5], v[4:5], v[42:43]
	v_add_f64 v[46:47], v[8:9], v[12:13]
	v_mul_f64 v[8:9], v[18:19], s[0:1]
	v_fma_f64 v[6:7], s[16:17], v[6:7], v[52:53]
	v_fma_f64 v[48:49], s[28:29], v[38:39], v[44:45]
	v_add_f64 v[50:51], v[4:5], v[36:37]
	v_fma_f64 v[36:37], v[38:39], s[24:25], -v[8:9]
	v_fma_f64 v[14:15], v[14:15], s[6:7], -v[56:57]
	v_fma_f64 v[20:21], v[20:21], s[0:1], -v[22:23]
	v_fma_f64 v[16:17], v[16:17], s[6:7], -v[60:61]
	v_fma_f64 v[22:23], v[18:19], s[0:1], -v[44:45]
	v_fmac_f64_e32 v[32:33], s[22:23], v[34:35]
	v_add_f64 v[58:59], v[6:7], v[54:55]
	v_fmac_f64_e32 v[48:49], s[22:23], v[50:51]
	v_fmac_f64_e32 v[66:67], s[22:23], v[34:35]
	;; [unrolled: 1-line block ×3, first 2 shown]
	v_add_f64 v[38:39], v[14:15], v[54:55]
	v_fmac_f64_e32 v[20:21], s[22:23], v[34:35]
	v_add_f64 v[16:17], v[16:17], v[12:13]
	v_fmac_f64_e32 v[22:23], s[22:23], v[50:51]
	v_accvgpr_read_b32 v27, a97
	v_add_f64 v[6:7], v[32:33], v[58:59]
	v_add_f64 v[4:5], v[64:65], -v[48:49]
	v_add_f64 v[10:11], v[66:67], v[40:41]
	v_add_f64 v[8:9], v[46:47], -v[36:37]
	v_add_f64 v[14:15], v[38:39], -v[20:21]
	v_add_f64 v[12:13], v[22:23], v[16:17]
	v_add_f64 v[18:19], v[20:21], v[38:39]
	v_add_f64 v[16:17], v[16:17], -v[22:23]
	v_add_f64 v[22:23], v[40:41], -v[66:67]
	v_add_f64 v[20:21], v[36:37], v[46:47]
	v_add_f64 v[34:35], v[58:59], -v[32:33]
	v_add_f64 v[32:33], v[48:49], v[64:65]
	ds_write_b128 v27, v[0:3] offset:21504
	ds_write_b128 v27, v[32:35] offset:22272
	;; [unrolled: 1-line block ×7, first 2 shown]
.LBB0_45:
	s_or_b64 exec, exec, s[30:31]
	s_waitcnt lgkmcnt(0)
	s_barrier
	ds_read_b128 v[56:59], v26
	ds_read_b128 v[60:63], v26 offset:1792
	ds_read_b128 v[6:9], v26 offset:10752
	;; [unrolled: 1-line block ×14, first 2 shown]
	s_waitcnt lgkmcnt(8)
	v_mul_f64 v[22:23], v[150:151], v[34:35]
	v_fmac_f64_e32 v[22:23], v[148:149], v[32:33]
	v_mul_f64 v[32:33], v[150:151], v[32:33]
	v_fma_f64 v[32:33], v[148:149], v[34:35], -v[32:33]
	v_mul_f64 v[34:35], v[162:163], v[8:9]
	v_fmac_f64_e32 v[34:35], v[160:161], v[6:7]
	v_mul_f64 v[6:7], v[162:163], v[6:7]
	v_fma_f64 v[84:85], v[160:161], v[8:9], -v[6:7]
	s_waitcnt lgkmcnt(4)
	v_mul_f64 v[82:83], v[158:159], v[46:47]
	v_mul_f64 v[6:7], v[158:159], v[44:45]
	v_fmac_f64_e32 v[82:83], v[156:157], v[44:45]
	v_fma_f64 v[44:45], v[156:157], v[46:47], -v[6:7]
	v_mul_f64 v[6:7], v[154:155], v[14:15]
	v_fma_f64 v[86:87], v[152:153], v[16:17], -v[6:7]
	v_mul_f64 v[6:7], v[178:179], v[36:37]
	v_mul_f64 v[88:89], v[178:179], v[38:39]
	v_fma_f64 v[90:91], v[176:177], v[38:39], -v[6:7]
	v_mul_f64 v[6:7], v[194:195], v[10:11]
	v_fmac_f64_e32 v[88:89], v[176:177], v[36:37]
	v_fma_f64 v[94:95], v[192:193], v[12:13], -v[6:7]
	s_waitcnt lgkmcnt(2)
	v_mul_f64 v[96:97], v[190:191], v[54:55]
	v_mul_f64 v[6:7], v[190:191], v[52:53]
	v_add_f64 v[36:37], v[56:57], v[22:23]
	v_mul_f64 v[46:47], v[154:155], v[16:17]
	v_fmac_f64_e32 v[96:97], v[188:189], v[52:53]
	v_fma_f64 v[52:53], v[188:189], v[54:55], -v[6:7]
	v_mul_f64 v[6:7], v[186:187], v[18:19]
	v_add_f64 v[36:37], v[36:37], v[34:35]
	v_fmac_f64_e32 v[46:47], v[152:153], v[14:15]
	v_mul_f64 v[54:55], v[186:187], v[20:21]
	v_fma_f64 v[98:99], v[184:185], v[20:21], -v[6:7]
	s_waitcnt lgkmcnt(0)
	v_mul_f64 v[20:21], v[206:207], v[74:75]
	v_add_f64 v[36:37], v[36:37], v[82:83]
	v_mad_u64_u32 v[2:3], s[0:1], s10, v30, 0
	v_mul_f64 v[92:93], v[194:195], v[12:13]
	v_fmac_f64_e32 v[54:55], v[184:185], v[18:19]
	v_mul_f64 v[18:19], v[210:211], v[70:71]
	v_fmac_f64_e32 v[20:21], v[204:205], v[72:73]
	v_mul_f64 v[12:13], v[206:207], v[72:73]
	v_add_f64 v[72:73], v[36:37], v[46:47]
	v_add_f64 v[36:37], v[34:35], v[82:83]
	s_mov_b32 s2, 0x134454ff
	v_mov_b32_e32 v0, s12
	v_mov_b32_e32 v1, s13
	v_fmac_f64_e32 v[92:93], v[192:193], v[10:11]
	v_mul_f64 v[14:15], v[202:203], v[42:43]
	v_mul_f64 v[6:7], v[202:203], v[40:41]
	v_fmac_f64_e32 v[18:19], v[208:209], v[68:69]
	v_mul_f64 v[10:11], v[210:211], v[68:69]
	v_fma_f64 v[68:69], -0.5, v[36:37], v[56:57]
	v_add_f64 v[36:37], v[32:33], -v[86:87]
	s_mov_b32 s3, 0xbfee6f0e
	s_mov_b32 s0, 0x4755a5e
	;; [unrolled: 1-line block ×4, first 2 shown]
	v_fmac_f64_e32 v[14:15], v[200:201], v[40:41]
	v_fma_f64 v[6:7], v[200:201], v[42:43], -v[6:7]
	v_fma_f64 v[76:77], s[2:3], v[36:37], v[68:69]
	v_add_f64 v[38:39], v[84:85], -v[44:45]
	s_mov_b32 s1, 0xbfe2cf23
	v_add_f64 v[40:41], v[22:23], -v[34:35]
	v_add_f64 v[42:43], v[46:47], -v[82:83]
	s_mov_b32 s6, 0x372fe950
	v_fmac_f64_e32 v[68:69], s[12:13], v[36:37]
	s_mov_b32 s15, 0x3fe2cf23
	s_mov_b32 s14, s0
	v_fmac_f64_e32 v[76:77], s[0:1], v[38:39]
	v_add_f64 v[40:41], v[40:41], v[42:43]
	s_mov_b32 s7, 0x3fd3c6ef
	v_fmac_f64_e32 v[68:69], s[14:15], v[38:39]
	v_fmac_f64_e32 v[76:77], s[6:7], v[40:41]
	;; [unrolled: 1-line block ×3, first 2 shown]
	v_add_f64 v[40:41], v[22:23], v[46:47]
	v_fmac_f64_e32 v[56:57], -0.5, v[40:41]
	v_fma_f64 v[80:81], s[12:13], v[38:39], v[56:57]
	v_fmac_f64_e32 v[56:57], s[2:3], v[38:39]
	v_fmac_f64_e32 v[80:81], s[0:1], v[36:37]
	;; [unrolled: 1-line block ×3, first 2 shown]
	v_add_f64 v[36:37], v[58:59], v[32:33]
	v_add_f64 v[36:37], v[36:37], v[84:85]
	;; [unrolled: 1-line block ×3, first 2 shown]
	v_fma_f64 v[12:13], v[204:205], v[74:75], -v[12:13]
	v_add_f64 v[74:75], v[36:37], v[86:87]
	v_add_f64 v[36:37], v[84:85], v[44:45]
	v_fma_f64 v[10:11], v[208:209], v[70:71], -v[10:11]
	v_add_f64 v[40:41], v[34:35], -v[22:23]
	v_fma_f64 v[70:71], -0.5, v[36:37], v[58:59]
	v_add_f64 v[22:23], v[22:23], -v[46:47]
	v_fma_f64 v[78:79], s[12:13], v[22:23], v[70:71]
	v_add_f64 v[34:35], v[34:35], -v[82:83]
	v_add_f64 v[36:37], v[32:33], -v[84:85]
	;; [unrolled: 1-line block ×3, first 2 shown]
	v_fmac_f64_e32 v[70:71], s[2:3], v[22:23]
	v_fmac_f64_e32 v[78:79], s[14:15], v[34:35]
	v_add_f64 v[36:37], v[36:37], v[38:39]
	v_fmac_f64_e32 v[70:71], s[0:1], v[34:35]
	v_fmac_f64_e32 v[78:79], s[6:7], v[36:37]
	;; [unrolled: 1-line block ×3, first 2 shown]
	v_add_f64 v[36:37], v[32:33], v[86:87]
	v_fmac_f64_e32 v[58:59], -0.5, v[36:37]
	v_add_f64 v[42:43], v[82:83], -v[46:47]
	v_fma_f64 v[82:83], s[2:3], v[34:35], v[58:59]
	v_fmac_f64_e32 v[58:59], s[12:13], v[34:35]
	v_fmac_f64_e32 v[82:83], s[14:15], v[22:23]
	;; [unrolled: 1-line block ×3, first 2 shown]
	v_add_f64 v[22:23], v[60:61], v[88:89]
	v_add_f64 v[32:33], v[84:85], -v[32:33]
	v_add_f64 v[36:37], v[44:45], -v[86:87]
	v_add_f64 v[22:23], v[22:23], v[92:93]
	v_add_f64 v[32:33], v[32:33], v[36:37]
	v_add_f64 v[22:23], v[22:23], v[96:97]
	v_fmac_f64_e32 v[82:83], s[6:7], v[32:33]
	v_fmac_f64_e32 v[58:59], s[6:7], v[32:33]
	v_add_f64 v[32:33], v[22:23], v[54:55]
	v_add_f64 v[22:23], v[92:93], v[96:97]
	;; [unrolled: 1-line block ×3, first 2 shown]
	v_fma_f64 v[36:37], -0.5, v[22:23], v[60:61]
	v_add_f64 v[22:23], v[90:91], -v[98:99]
	v_fmac_f64_e32 v[80:81], s[6:7], v[40:41]
	v_fmac_f64_e32 v[56:57], s[6:7], v[40:41]
	v_fma_f64 v[40:41], s[2:3], v[22:23], v[36:37]
	v_add_f64 v[34:35], v[94:95], -v[52:53]
	v_add_f64 v[38:39], v[88:89], -v[92:93]
	;; [unrolled: 1-line block ×3, first 2 shown]
	v_fmac_f64_e32 v[36:37], s[12:13], v[22:23]
	v_fmac_f64_e32 v[40:41], s[0:1], v[34:35]
	v_add_f64 v[38:39], v[38:39], v[42:43]
	v_fmac_f64_e32 v[36:37], s[14:15], v[34:35]
	v_fmac_f64_e32 v[40:41], s[6:7], v[38:39]
	;; [unrolled: 1-line block ×3, first 2 shown]
	v_add_f64 v[38:39], v[88:89], v[54:55]
	v_fmac_f64_e32 v[60:61], -0.5, v[38:39]
	v_fma_f64 v[44:45], s[12:13], v[34:35], v[60:61]
	v_fmac_f64_e32 v[60:61], s[2:3], v[34:35]
	v_fmac_f64_e32 v[44:45], s[0:1], v[22:23]
	;; [unrolled: 1-line block ×3, first 2 shown]
	v_add_f64 v[22:23], v[62:63], v[90:91]
	v_add_f64 v[22:23], v[22:23], v[94:95]
	v_add_f64 v[38:39], v[92:93], -v[88:89]
	v_add_f64 v[42:43], v[96:97], -v[54:55]
	v_add_f64 v[22:23], v[22:23], v[52:53]
	v_add_f64 v[38:39], v[38:39], v[42:43]
	;; [unrolled: 1-line block ×4, first 2 shown]
	v_mul_f64 v[16:17], v[214:215], v[50:51]
	v_mul_f64 v[8:9], v[214:215], v[48:49]
	v_fmac_f64_e32 v[44:45], s[6:7], v[38:39]
	v_fmac_f64_e32 v[60:61], s[6:7], v[38:39]
	v_fma_f64 v[38:39], -0.5, v[22:23], v[62:63]
	v_add_f64 v[22:23], v[88:89], -v[54:55]
	v_fmac_f64_e32 v[16:17], v[212:213], v[48:49]
	v_fma_f64 v[8:9], v[212:213], v[50:51], -v[8:9]
	v_fma_f64 v[42:43], s[12:13], v[22:23], v[38:39]
	v_add_f64 v[48:49], v[92:93], -v[96:97]
	v_add_f64 v[46:47], v[90:91], -v[94:95]
	;; [unrolled: 1-line block ×3, first 2 shown]
	v_fmac_f64_e32 v[38:39], s[2:3], v[22:23]
	v_fmac_f64_e32 v[42:43], s[14:15], v[48:49]
	v_add_f64 v[46:47], v[46:47], v[50:51]
	v_fmac_f64_e32 v[38:39], s[0:1], v[48:49]
	v_fmac_f64_e32 v[42:43], s[6:7], v[46:47]
	;; [unrolled: 1-line block ×3, first 2 shown]
	v_add_f64 v[46:47], v[90:91], v[98:99]
	v_fmac_f64_e32 v[62:63], -0.5, v[46:47]
	v_fma_f64 v[46:47], s[2:3], v[48:49], v[62:63]
	v_fmac_f64_e32 v[62:63], s[12:13], v[48:49]
	v_fmac_f64_e32 v[46:47], s[14:15], v[22:23]
	;; [unrolled: 1-line block ×3, first 2 shown]
	v_add_f64 v[22:23], v[64:65], v[14:15]
	v_add_f64 v[22:23], v[22:23], v[16:17]
	v_add_f64 v[22:23], v[22:23], v[18:19]
	v_add_f64 v[50:51], v[94:95], -v[90:91]
	v_add_f64 v[52:53], v[52:53], -v[98:99]
	v_add_f64 v[48:49], v[22:23], v[20:21]
	v_add_f64 v[22:23], v[16:17], v[18:19]
	;; [unrolled: 1-line block ×3, first 2 shown]
	v_fma_f64 v[52:53], -0.5, v[22:23], v[64:65]
	v_add_f64 v[22:23], v[6:7], -v[12:13]
	v_fmac_f64_e32 v[46:47], s[6:7], v[50:51]
	v_fmac_f64_e32 v[62:63], s[6:7], v[50:51]
	v_fma_f64 v[84:85], s[2:3], v[22:23], v[52:53]
	v_add_f64 v[50:51], v[8:9], -v[10:11]
	v_add_f64 v[54:55], v[14:15], -v[16:17]
	;; [unrolled: 1-line block ×3, first 2 shown]
	v_fmac_f64_e32 v[52:53], s[12:13], v[22:23]
	v_fmac_f64_e32 v[84:85], s[0:1], v[50:51]
	v_add_f64 v[54:55], v[54:55], v[86:87]
	v_fmac_f64_e32 v[52:53], s[14:15], v[50:51]
	v_fmac_f64_e32 v[84:85], s[6:7], v[54:55]
	;; [unrolled: 1-line block ×3, first 2 shown]
	v_add_f64 v[54:55], v[14:15], v[20:21]
	v_fmac_f64_e32 v[64:65], -0.5, v[54:55]
	v_fma_f64 v[88:89], s[12:13], v[50:51], v[64:65]
	v_fmac_f64_e32 v[64:65], s[2:3], v[50:51]
	v_fmac_f64_e32 v[88:89], s[0:1], v[22:23]
	;; [unrolled: 1-line block ×3, first 2 shown]
	v_add_f64 v[22:23], v[66:67], v[6:7]
	v_add_f64 v[22:23], v[22:23], v[8:9]
	v_add_f64 v[54:55], v[16:17], -v[14:15]
	v_add_f64 v[86:87], v[18:19], -v[20:21]
	v_add_f64 v[22:23], v[22:23], v[10:11]
	v_add_f64 v[54:55], v[54:55], v[86:87]
	;; [unrolled: 1-line block ×4, first 2 shown]
	v_fmac_f64_e32 v[88:89], s[6:7], v[54:55]
	v_fmac_f64_e32 v[64:65], s[6:7], v[54:55]
	v_fma_f64 v[54:55], -0.5, v[22:23], v[66:67]
	v_add_f64 v[14:15], v[14:15], -v[20:21]
	v_fma_f64 v[86:87], s[12:13], v[14:15], v[54:55]
	v_add_f64 v[16:17], v[16:17], -v[18:19]
	v_add_f64 v[18:19], v[6:7], -v[8:9]
	;; [unrolled: 1-line block ×3, first 2 shown]
	v_fmac_f64_e32 v[54:55], s[2:3], v[14:15]
	v_fmac_f64_e32 v[86:87], s[14:15], v[16:17]
	v_add_f64 v[18:19], v[18:19], v[20:21]
	v_fmac_f64_e32 v[54:55], s[0:1], v[16:17]
	v_fmac_f64_e32 v[86:87], s[6:7], v[18:19]
	;; [unrolled: 1-line block ×3, first 2 shown]
	v_add_f64 v[18:19], v[6:7], v[12:13]
	v_fmac_f64_e32 v[66:67], -0.5, v[18:19]
	v_fma_f64 v[90:91], s[2:3], v[16:17], v[66:67]
	v_add_f64 v[6:7], v[8:9], -v[6:7]
	v_add_f64 v[8:9], v[10:11], -v[12:13]
	v_fmac_f64_e32 v[66:67], s[12:13], v[16:17]
	v_fmac_f64_e32 v[90:91], s[14:15], v[14:15]
	v_add_f64 v[6:7], v[6:7], v[8:9]
	v_fmac_f64_e32 v[66:67], s[0:1], v[14:15]
	v_fmac_f64_e32 v[90:91], s[6:7], v[6:7]
	;; [unrolled: 1-line block ×3, first 2 shown]
	ds_write_b128 v26, v[72:75]
	ds_write_b128 v26, v[76:79] offset:5376
	ds_write_b128 v26, v[80:83] offset:10752
	;; [unrolled: 1-line block ×14, first 2 shown]
	s_waitcnt lgkmcnt(0)
	s_barrier
	ds_read_b128 v[6:9], v26
	ds_read_b128 v[10:13], v26 offset:1792
	v_mov_b32_e32 v4, v3
	v_accvgpr_read_b32 v14, a52
	v_mad_u64_u32 v[4:5], s[0:1], s11, v30, v[4:5]
	v_accvgpr_read_b32 v16, a54
	v_accvgpr_read_b32 v17, a55
	v_mov_b32_e32 v3, v4
	v_accvgpr_read_b32 v15, a53
	s_waitcnt lgkmcnt(1)
	v_mul_f64 v[4:5], v[16:17], v[8:9]
	v_fmac_f64_e32 v[4:5], v[14:15], v[6:7]
	v_mul_f64 v[6:7], v[16:17], v[6:7]
	v_fma_f64 v[6:7], v[14:15], v[8:9], -v[6:7]
	v_mad_u64_u32 v[8:9], s[2:3], s8, v28, 0
	v_mov_b32_e32 v14, v9
	v_mad_u64_u32 v[14:15], s[2:3], s9, v28, v[14:15]
	v_mov_b32_e32 v9, v14
	ds_read_b128 v[14:17], v26 offset:13440
	s_mov_b32 s0, 0x13813814
	s_mov_b32 s1, 0x3f438138
	v_lshl_add_u64 v[0:1], v[2:3], 4, v[0:1]
	v_accvgpr_read_b32 v21, a3
	v_mul_f64 v[4:5], v[4:5], s[0:1]
	v_mul_f64 v[6:7], v[6:7], s[0:1]
	v_lshl_add_u64 v[8:9], v[8:9], 4, v[0:1]
	ds_read_b128 v[0:3], v26 offset:10752
	v_accvgpr_read_b32 v20, a2
	s_mul_i32 s2, s9, 0x348
	s_mul_hi_u32 s3, s8, 0x348
	global_store_dwordx4 v[8:9], v[4:7], off
	v_accvgpr_read_b32 v19, a1
	v_accvgpr_read_b32 v18, a0
	s_waitcnt lgkmcnt(1)
	v_mul_f64 v[4:5], v[20:21], v[16:17]
	v_mul_f64 v[6:7], v[20:21], v[14:15]
	s_add_i32 s3, s3, s2
	s_mul_i32 s2, s8, 0x348
	v_fmac_f64_e32 v[4:5], v[18:19], v[14:15]
	v_fma_f64 v[6:7], v[18:19], v[16:17], -v[6:7]
	s_lshl_b64 s[10:11], s[2:3], 4
	v_accvgpr_read_b32 v19, a7
	v_mul_f64 v[4:5], v[4:5], s[0:1]
	v_mul_f64 v[6:7], v[6:7], s[0:1]
	v_lshl_add_u64 v[14:15], v[8:9], 0, s[10:11]
	v_accvgpr_read_b32 v18, a6
	global_store_dwordx4 v[14:15], v[4:7], off
	v_accvgpr_read_b32 v17, a5
	v_accvgpr_read_b32 v16, a4
	v_mul_f64 v[4:5], v[18:19], v[12:13]
	v_fmac_f64_e32 v[4:5], v[16:17], v[10:11]
	v_mul_f64 v[6:7], v[18:19], v[10:11]
	s_mul_hi_u32 s7, s8, 0xfffffd28
	ds_read_b128 v[8:11], v26 offset:15232
	s_mul_i32 s6, s9, 0xfffffd28
	s_sub_i32 s7, s7, s8
	s_add_i32 s7, s7, s6
	s_mul_i32 s6, s8, 0xfffffd28
	v_fma_f64 v[6:7], v[16:17], v[12:13], -v[6:7]
	s_lshl_b64 s[8:9], s[6:7], 4
	v_accvgpr_read_b32 v21, a11
	v_mul_f64 v[4:5], v[4:5], s[0:1]
	v_mul_f64 v[6:7], v[6:7], s[0:1]
	v_lshl_add_u64 v[16:17], v[14:15], 0, s[8:9]
	v_accvgpr_read_b32 v20, a10
	global_store_dwordx4 v[16:17], v[4:7], off
	ds_read_b128 v[4:7], v26 offset:17024
	v_accvgpr_read_b32 v19, a9
	v_accvgpr_read_b32 v18, a8
	s_waitcnt lgkmcnt(1)
	v_mul_f64 v[12:13], v[20:21], v[10:11]
	v_fmac_f64_e32 v[12:13], v[18:19], v[8:9]
	v_mul_f64 v[8:9], v[20:21], v[8:9]
	v_fma_f64 v[14:15], v[18:19], v[10:11], -v[8:9]
	ds_read_b128 v[8:11], v26 offset:3584
	v_accvgpr_read_b32 v31, a15
	v_mul_f64 v[12:13], v[12:13], s[0:1]
	v_mul_f64 v[14:15], v[14:15], s[0:1]
	v_lshl_add_u64 v[20:21], v[16:17], 0, s[10:11]
	v_accvgpr_read_b32 v30, a14
	global_store_dwordx4 v[20:21], v[12:15], off
	ds_read_b128 v[12:15], v26 offset:5376
	v_accvgpr_read_b32 v29, a13
	v_accvgpr_read_b32 v28, a12
	s_waitcnt lgkmcnt(1)
	v_mul_f64 v[16:17], v[30:31], v[10:11]
	v_fmac_f64_e32 v[16:17], v[28:29], v[8:9]
	v_mul_f64 v[8:9], v[30:31], v[8:9]
	v_fma_f64 v[8:9], v[28:29], v[10:11], -v[8:9]
	v_mul_f64 v[16:17], v[16:17], s[0:1]
	v_mul_f64 v[18:19], v[8:9], s[0:1]
	v_lshl_add_u64 v[20:21], v[20:21], 0, s[8:9]
	global_store_dwordx4 v[20:21], v[16:19], off
	v_accvgpr_read_b32 v28, a28
	v_accvgpr_read_b32 v30, a30
	;; [unrolled: 1-line block ×6, first 2 shown]
	v_mul_f64 v[8:9], v[18:19], v[6:7]
	v_fmac_f64_e32 v[8:9], v[16:17], v[4:5]
	v_mul_f64 v[4:5], v[18:19], v[4:5]
	v_fma_f64 v[4:5], v[16:17], v[6:7], -v[4:5]
	v_mul_f64 v[8:9], v[8:9], s[0:1]
	v_mul_f64 v[10:11], v[4:5], s[0:1]
	v_lshl_add_u64 v[16:17], v[20:21], 0, s[10:11]
	global_store_dwordx4 v[16:17], v[8:11], off
	v_accvgpr_read_b32 v18, a24
	v_lshl_add_u64 v[16:17], v[16:17], 0, s[8:9]
	v_accvgpr_read_b32 v8, a20
	v_accvgpr_read_b32 v10, a22
	;; [unrolled: 1-line block ×4, first 2 shown]
	s_waitcnt lgkmcnt(0)
	v_mul_f64 v[4:5], v[10:11], v[14:15]
	v_mul_f64 v[6:7], v[10:11], v[12:13]
	v_fmac_f64_e32 v[4:5], v[8:9], v[12:13]
	v_fma_f64 v[6:7], v[8:9], v[14:15], -v[6:7]
	ds_read_b128 v[8:11], v26 offset:18816
	v_mul_f64 v[4:5], v[4:5], s[0:1]
	v_mul_f64 v[6:7], v[6:7], s[0:1]
	v_accvgpr_read_b32 v20, a26
	v_accvgpr_read_b32 v21, a27
	global_store_dwordx4 v[16:17], v[4:7], off
	ds_read_b128 v[4:7], v26 offset:20608
	v_accvgpr_read_b32 v19, a25
	s_waitcnt lgkmcnt(1)
	v_mul_f64 v[12:13], v[20:21], v[10:11]
	v_fmac_f64_e32 v[12:13], v[18:19], v[8:9]
	v_mul_f64 v[8:9], v[20:21], v[8:9]
	v_fma_f64 v[14:15], v[18:19], v[10:11], -v[8:9]
	ds_read_b128 v[8:11], v26 offset:7168
	v_mul_f64 v[12:13], v[12:13], s[0:1]
	v_mul_f64 v[14:15], v[14:15], s[0:1]
	v_lshl_add_u64 v[20:21], v[16:17], 0, s[10:11]
	v_accvgpr_read_b32 v31, a31
	global_store_dwordx4 v[20:21], v[12:15], off
	ds_read_b128 v[12:15], v26 offset:8960
	v_accvgpr_read_b32 v29, a29
	s_waitcnt lgkmcnt(1)
	v_mul_f64 v[16:17], v[30:31], v[10:11]
	v_fmac_f64_e32 v[16:17], v[28:29], v[8:9]
	v_mul_f64 v[8:9], v[30:31], v[8:9]
	v_fma_f64 v[8:9], v[28:29], v[10:11], -v[8:9]
	v_mul_f64 v[16:17], v[16:17], s[0:1]
	v_mul_f64 v[18:19], v[8:9], s[0:1]
	v_lshl_add_u64 v[20:21], v[20:21], 0, s[8:9]
	global_store_dwordx4 v[20:21], v[16:19], off
	s_nop 1
	v_accvgpr_read_b32 v16, a32
	v_accvgpr_read_b32 v18, a34
	v_accvgpr_read_b32 v19, a35
	v_accvgpr_read_b32 v17, a33
	v_mul_f64 v[8:9], v[18:19], v[6:7]
	v_fmac_f64_e32 v[8:9], v[16:17], v[4:5]
	v_mul_f64 v[4:5], v[18:19], v[4:5]
	v_fma_f64 v[4:5], v[16:17], v[6:7], -v[4:5]
	v_mul_f64 v[8:9], v[8:9], s[0:1]
	v_mul_f64 v[10:11], v[4:5], s[0:1]
	v_lshl_add_u64 v[16:17], v[20:21], 0, s[10:11]
	global_store_dwordx4 v[16:17], v[8:11], off
	v_accvgpr_read_b32 v18, a36
	v_lshl_add_u64 v[16:17], v[16:17], 0, s[8:9]
	v_accvgpr_read_b32 v8, a40
	v_accvgpr_read_b32 v10, a42
	;; [unrolled: 1-line block ×4, first 2 shown]
	s_waitcnt lgkmcnt(0)
	v_mul_f64 v[4:5], v[10:11], v[14:15]
	v_mul_f64 v[6:7], v[10:11], v[12:13]
	v_fmac_f64_e32 v[4:5], v[8:9], v[12:13]
	v_fma_f64 v[6:7], v[8:9], v[14:15], -v[6:7]
	ds_read_b128 v[8:11], v26 offset:22400
	v_mul_f64 v[4:5], v[4:5], s[0:1]
	v_mul_f64 v[6:7], v[6:7], s[0:1]
	v_accvgpr_read_b32 v20, a38
	v_accvgpr_read_b32 v21, a39
	global_store_dwordx4 v[16:17], v[4:7], off
	ds_read_b128 v[4:7], v26 offset:24192
	v_accvgpr_read_b32 v19, a37
	s_waitcnt lgkmcnt(1)
	v_mul_f64 v[12:13], v[20:21], v[10:11]
	v_fmac_f64_e32 v[12:13], v[18:19], v[8:9]
	v_mul_f64 v[8:9], v[20:21], v[8:9]
	v_fma_f64 v[8:9], v[18:19], v[10:11], -v[8:9]
	v_mul_f64 v[12:13], v[12:13], s[0:1]
	v_mul_f64 v[14:15], v[8:9], s[0:1]
	v_lshl_add_u64 v[16:17], v[16:17], 0, s[10:11]
	global_store_dwordx4 v[16:17], v[12:15], off
	v_accvgpr_read_b32 v10, a44
	v_accvgpr_read_b32 v11, a45
	;; [unrolled: 1-line block ×4, first 2 shown]
	v_mul_f64 v[8:9], v[12:13], v[2:3]
	v_fmac_f64_e32 v[8:9], v[10:11], v[0:1]
	v_mul_f64 v[0:1], v[12:13], v[0:1]
	v_fma_f64 v[0:1], v[10:11], v[2:3], -v[0:1]
	v_mul_f64 v[8:9], v[8:9], s[0:1]
	v_mul_f64 v[10:11], v[0:1], s[0:1]
	v_lshl_add_u64 v[0:1], v[16:17], 0, s[8:9]
	global_store_dwordx4 v[0:1], v[8:11], off
	v_lshl_add_u64 v[0:1], v[0:1], 0, s[10:11]
	s_nop 0
	v_accvgpr_read_b32 v8, a48
	v_accvgpr_read_b32 v10, a50
	v_accvgpr_read_b32 v11, a51
	v_accvgpr_read_b32 v9, a49
	s_waitcnt lgkmcnt(0)
	v_mul_f64 v[2:3], v[10:11], v[6:7]
	v_fmac_f64_e32 v[2:3], v[8:9], v[4:5]
	v_mul_f64 v[4:5], v[10:11], v[4:5]
	v_fma_f64 v[4:5], v[8:9], v[6:7], -v[4:5]
	v_mul_f64 v[2:3], v[2:3], s[0:1]
	v_mul_f64 v[4:5], v[4:5], s[0:1]
	global_store_dwordx4 v[0:1], v[2:5], off
	s_and_b64 exec, exec, s[4:5]
	s_cbranch_execz .LBB0_47
; %bb.46:
	v_add_co_u32_e32 v2, vcc, 0x3000, v24
	v_lshl_add_u64 v[14:15], s[6:7], 4, v[0:1]
	s_nop 0
	v_addc_co_u32_e32 v3, vcc, 0, v25, vcc
	global_load_dwordx4 v[2:5], v[2:3], off offset:256
	ds_read_b128 v[6:9], v26 offset:12544
	ds_read_b128 v[10:13], v26 offset:25984
	s_movk_i32 s4, 0x6000
	v_add_co_u32_e32 v16, vcc, s4, v24
	s_waitcnt vmcnt(0) lgkmcnt(1)
	v_mul_f64 v[0:1], v[8:9], v[4:5]
	v_mul_f64 v[4:5], v[6:7], v[4:5]
	v_fmac_f64_e32 v[0:1], v[6:7], v[2:3]
	v_fma_f64 v[2:3], v[2:3], v[8:9], -v[4:5]
	v_mul_f64 v[0:1], v[0:1], s[0:1]
	v_mul_f64 v[2:3], v[2:3], s[0:1]
	v_addc_co_u32_e32 v17, vcc, 0, v25, vcc
	global_store_dwordx4 v[14:15], v[0:3], off
	global_load_dwordx4 v[0:3], v[16:17], off offset:1408
	s_waitcnt vmcnt(0) lgkmcnt(0)
	v_mul_f64 v[4:5], v[12:13], v[2:3]
	v_mul_f64 v[2:3], v[10:11], v[2:3]
	v_fmac_f64_e32 v[4:5], v[10:11], v[0:1]
	v_fma_f64 v[2:3], v[0:1], v[12:13], -v[2:3]
	v_mul_f64 v[0:1], v[4:5], s[0:1]
	v_mul_f64 v[2:3], v[2:3], s[0:1]
	v_lshl_add_u64 v[4:5], s[2:3], 4, v[14:15]
	global_store_dwordx4 v[4:5], v[0:3], off
.LBB0_47:
	s_endpgm
	.section	.rodata,"a",@progbits
	.p2align	6, 0x0
	.amdhsa_kernel bluestein_single_back_len1680_dim1_dp_op_CI_CI
		.amdhsa_group_segment_fixed_size 26880
		.amdhsa_private_segment_fixed_size 0
		.amdhsa_kernarg_size 104
		.amdhsa_user_sgpr_count 2
		.amdhsa_user_sgpr_dispatch_ptr 0
		.amdhsa_user_sgpr_queue_ptr 0
		.amdhsa_user_sgpr_kernarg_segment_ptr 1
		.amdhsa_user_sgpr_dispatch_id 0
		.amdhsa_user_sgpr_kernarg_preload_length 0
		.amdhsa_user_sgpr_kernarg_preload_offset 0
		.amdhsa_user_sgpr_private_segment_size 0
		.amdhsa_uses_dynamic_stack 0
		.amdhsa_enable_private_segment 0
		.amdhsa_system_sgpr_workgroup_id_x 1
		.amdhsa_system_sgpr_workgroup_id_y 0
		.amdhsa_system_sgpr_workgroup_id_z 0
		.amdhsa_system_sgpr_workgroup_info 0
		.amdhsa_system_vgpr_workitem_id 0
		.amdhsa_next_free_vgpr 354
		.amdhsa_next_free_sgpr 36
		.amdhsa_accum_offset 256
		.amdhsa_reserve_vcc 1
		.amdhsa_float_round_mode_32 0
		.amdhsa_float_round_mode_16_64 0
		.amdhsa_float_denorm_mode_32 3
		.amdhsa_float_denorm_mode_16_64 3
		.amdhsa_dx10_clamp 1
		.amdhsa_ieee_mode 1
		.amdhsa_fp16_overflow 0
		.amdhsa_tg_split 0
		.amdhsa_exception_fp_ieee_invalid_op 0
		.amdhsa_exception_fp_denorm_src 0
		.amdhsa_exception_fp_ieee_div_zero 0
		.amdhsa_exception_fp_ieee_overflow 0
		.amdhsa_exception_fp_ieee_underflow 0
		.amdhsa_exception_fp_ieee_inexact 0
		.amdhsa_exception_int_div_zero 0
	.end_amdhsa_kernel
	.text
.Lfunc_end0:
	.size	bluestein_single_back_len1680_dim1_dp_op_CI_CI, .Lfunc_end0-bluestein_single_back_len1680_dim1_dp_op_CI_CI
                                        ; -- End function
	.section	.AMDGPU.csdata,"",@progbits
; Kernel info:
; codeLenInByte = 23952
; NumSgprs: 42
; NumVgprs: 256
; NumAgprs: 98
; TotalNumVgprs: 354
; ScratchSize: 0
; MemoryBound: 0
; FloatMode: 240
; IeeeMode: 1
; LDSByteSize: 26880 bytes/workgroup (compile time only)
; SGPRBlocks: 5
; VGPRBlocks: 44
; NumSGPRsForWavesPerEU: 42
; NumVGPRsForWavesPerEU: 354
; AccumOffset: 256
; Occupancy: 1
; WaveLimiterHint : 1
; COMPUTE_PGM_RSRC2:SCRATCH_EN: 0
; COMPUTE_PGM_RSRC2:USER_SGPR: 2
; COMPUTE_PGM_RSRC2:TRAP_HANDLER: 0
; COMPUTE_PGM_RSRC2:TGID_X_EN: 1
; COMPUTE_PGM_RSRC2:TGID_Y_EN: 0
; COMPUTE_PGM_RSRC2:TGID_Z_EN: 0
; COMPUTE_PGM_RSRC2:TIDIG_COMP_CNT: 0
; COMPUTE_PGM_RSRC3_GFX90A:ACCUM_OFFSET: 63
; COMPUTE_PGM_RSRC3_GFX90A:TG_SPLIT: 0
	.text
	.p2alignl 6, 3212836864
	.fill 256, 4, 3212836864
	.type	__hip_cuid_5afbf406daff8f67,@object ; @__hip_cuid_5afbf406daff8f67
	.section	.bss,"aw",@nobits
	.globl	__hip_cuid_5afbf406daff8f67
__hip_cuid_5afbf406daff8f67:
	.byte	0                               ; 0x0
	.size	__hip_cuid_5afbf406daff8f67, 1

	.ident	"AMD clang version 19.0.0git (https://github.com/RadeonOpenCompute/llvm-project roc-6.4.0 25133 c7fe45cf4b819c5991fe208aaa96edf142730f1d)"
	.section	".note.GNU-stack","",@progbits
	.addrsig
	.addrsig_sym __hip_cuid_5afbf406daff8f67
	.amdgpu_metadata
---
amdhsa.kernels:
  - .agpr_count:     98
    .args:
      - .actual_access:  read_only
        .address_space:  global
        .offset:         0
        .size:           8
        .value_kind:     global_buffer
      - .actual_access:  read_only
        .address_space:  global
        .offset:         8
        .size:           8
        .value_kind:     global_buffer
      - .actual_access:  read_only
        .address_space:  global
        .offset:         16
        .size:           8
        .value_kind:     global_buffer
      - .actual_access:  read_only
        .address_space:  global
        .offset:         24
        .size:           8
        .value_kind:     global_buffer
      - .actual_access:  read_only
        .address_space:  global
        .offset:         32
        .size:           8
        .value_kind:     global_buffer
      - .offset:         40
        .size:           8
        .value_kind:     by_value
      - .address_space:  global
        .offset:         48
        .size:           8
        .value_kind:     global_buffer
      - .address_space:  global
        .offset:         56
        .size:           8
        .value_kind:     global_buffer
      - .address_space:  global
        .offset:         64
        .size:           8
        .value_kind:     global_buffer
      - .address_space:  global
        .offset:         72
        .size:           8
        .value_kind:     global_buffer
      - .offset:         80
        .size:           4
        .value_kind:     by_value
      - .address_space:  global
        .offset:         88
        .size:           8
        .value_kind:     global_buffer
      - .address_space:  global
        .offset:         96
        .size:           8
        .value_kind:     global_buffer
    .group_segment_fixed_size: 26880
    .kernarg_segment_align: 8
    .kernarg_segment_size: 104
    .language:       OpenCL C
    .language_version:
      - 2
      - 0
    .max_flat_workgroup_size: 112
    .name:           bluestein_single_back_len1680_dim1_dp_op_CI_CI
    .private_segment_fixed_size: 0
    .sgpr_count:     42
    .sgpr_spill_count: 0
    .symbol:         bluestein_single_back_len1680_dim1_dp_op_CI_CI.kd
    .uniform_work_group_size: 1
    .uses_dynamic_stack: false
    .vgpr_count:     354
    .vgpr_spill_count: 0
    .wavefront_size: 64
amdhsa.target:   amdgcn-amd-amdhsa--gfx950
amdhsa.version:
  - 1
  - 2
...

	.end_amdgpu_metadata
